;; amdgpu-corpus repo=ROCm/rocFFT kind=compiled arch=gfx906 opt=O3
	.text
	.amdgcn_target "amdgcn-amd-amdhsa--gfx906"
	.amdhsa_code_object_version 6
	.protected	fft_rtc_fwd_len289_factors_17_17_wgs_119_tpt_17_half_op_CI_CI_sbcc_twdbase8_2step_dirReg ; -- Begin function fft_rtc_fwd_len289_factors_17_17_wgs_119_tpt_17_half_op_CI_CI_sbcc_twdbase8_2step_dirReg
	.globl	fft_rtc_fwd_len289_factors_17_17_wgs_119_tpt_17_half_op_CI_CI_sbcc_twdbase8_2step_dirReg
	.p2align	8
	.type	fft_rtc_fwd_len289_factors_17_17_wgs_119_tpt_17_half_op_CI_CI_sbcc_twdbase8_2step_dirReg,@function
fft_rtc_fwd_len289_factors_17_17_wgs_119_tpt_17_half_op_CI_CI_sbcc_twdbase8_2step_dirReg: ; @fft_rtc_fwd_len289_factors_17_17_wgs_119_tpt_17_half_op_CI_CI_sbcc_twdbase8_2step_dirReg
; %bb.0:
	s_load_dwordx4 s[0:3], s[4:5], 0x18
	s_load_dwordx2 s[30:31], s[4:5], 0x28
	s_mov_b32 s7, 0
	s_mov_b64 s[24:25], 0
	s_waitcnt lgkmcnt(0)
	s_load_dwordx2 s[28:29], s[0:1], 0x8
	s_waitcnt lgkmcnt(0)
	s_add_u32 s8, s28, -1
	s_addc_u32 s9, s29, -1
	s_add_u32 s10, 0, 0x92481000
	s_addc_u32 s11, 0, 0x64
	s_mul_hi_u32 s13, s10, -7
	s_add_i32 s11, s11, 0x249248c0
	s_sub_i32 s13, s13, s10
	s_mul_i32 s16, s11, -7
	s_mul_i32 s12, s10, -7
	s_add_i32 s13, s13, s16
	s_mul_hi_u32 s14, s11, s12
	s_mul_i32 s15, s11, s12
	s_mul_i32 s17, s10, s13
	s_mul_hi_u32 s12, s10, s12
	s_mul_hi_u32 s16, s10, s13
	s_add_u32 s12, s12, s17
	s_addc_u32 s16, 0, s16
	s_add_u32 s12, s12, s15
	s_mul_hi_u32 s17, s11, s13
	s_addc_u32 s12, s16, s14
	s_addc_u32 s14, s17, 0
	s_mul_i32 s13, s11, s13
	s_add_u32 s12, s12, s13
	v_mov_b32_e32 v1, s12
	s_addc_u32 s13, 0, s14
	v_add_co_u32_e32 v1, vcc, s10, v1
	s_cmp_lg_u64 vcc, 0
	s_addc_u32 s10, s11, s13
	v_readfirstlane_b32 s13, v1
	s_mul_i32 s12, s8, s10
	s_mul_hi_u32 s14, s8, s13
	s_mul_hi_u32 s11, s8, s10
	s_add_u32 s12, s14, s12
	s_addc_u32 s11, 0, s11
	s_mul_hi_u32 s15, s9, s13
	s_mul_i32 s13, s9, s13
	s_add_u32 s12, s12, s13
	s_mul_hi_u32 s14, s9, s10
	s_addc_u32 s11, s11, s15
	s_addc_u32 s12, s14, 0
	s_mul_i32 s10, s9, s10
	s_add_u32 s10, s11, s10
	s_addc_u32 s11, 0, s12
	s_add_u32 s12, s10, 1
	s_addc_u32 s13, s11, 0
	s_add_u32 s14, s10, 2
	s_mul_i32 s16, s11, 7
	s_mul_hi_u32 s17, s10, 7
	s_addc_u32 s15, s11, 0
	s_add_i32 s17, s17, s16
	s_mul_i32 s16, s10, 7
	v_mov_b32_e32 v1, s16
	v_sub_co_u32_e32 v1, vcc, s8, v1
	s_cmp_lg_u64 vcc, 0
	s_subb_u32 s8, s9, s17
	v_subrev_co_u32_e32 v2, vcc, 7, v1
	s_cmp_lg_u64 vcc, 0
	s_subb_u32 s9, s8, 0
	v_readfirstlane_b32 s16, v2
	s_cmp_gt_u32 s16, 6
	s_cselect_b32 s16, -1, 0
	s_cmp_eq_u32 s9, 0
	s_cselect_b32 s9, s16, -1
	s_cmp_lg_u32 s9, 0
	s_cselect_b32 s9, s14, s12
	s_cselect_b32 s12, s15, s13
	v_readfirstlane_b32 s13, v1
	s_cmp_gt_u32 s13, 6
	s_cselect_b32 s13, -1, 0
	s_cmp_eq_u32 s8, 0
	s_cselect_b32 s8, s13, -1
	s_cmp_lg_u32 s8, 0
	s_cselect_b32 s9, s9, s10
	s_cselect_b32 s8, s12, s11
	s_add_u32 s36, s9, 1
	s_addc_u32 s37, s8, 0
	v_mov_b32_e32 v1, s36
	v_mov_b32_e32 v2, s37
	v_cmp_lt_u64_e32 vcc, s[6:7], v[1:2]
	s_cbranch_vccnz .LBB0_2
; %bb.1:
	v_cvt_f32_u32_e32 v1, s36
	s_sub_i32 s8, 0, s36
	s_mov_b32 s25, s7
	v_rcp_iflag_f32_e32 v1, v1
	v_mul_f32_e32 v1, 0x4f7ffffe, v1
	v_cvt_u32_f32_e32 v1, v1
	v_readfirstlane_b32 s9, v1
	s_mul_i32 s8, s8, s9
	s_mul_hi_u32 s8, s9, s8
	s_add_i32 s9, s9, s8
	s_mul_hi_u32 s8, s6, s9
	s_mul_i32 s10, s8, s36
	s_sub_i32 s10, s6, s10
	s_add_i32 s9, s8, 1
	s_sub_i32 s11, s10, s36
	s_cmp_ge_u32 s10, s36
	s_cselect_b32 s8, s9, s8
	s_cselect_b32 s10, s11, s10
	s_add_i32 s9, s8, 1
	s_cmp_ge_u32 s10, s36
	s_cselect_b32 s24, s9, s8
.LBB0_2:
	s_load_dwordx4 s[12:15], s[4:5], 0x60
	s_load_dwordx4 s[20:23], s[2:3], 0x0
	;; [unrolled: 1-line block ×3, first 2 shown]
	s_load_dwordx2 s[26:27], s[4:5], 0x0
	s_load_dwordx4 s[16:19], s[4:5], 0x8
	s_mul_i32 s4, s24, s37
	s_mul_hi_u32 s5, s24, s36
	s_add_i32 s5, s5, s4
	s_mul_i32 s4, s24, s36
	s_sub_u32 s52, s6, s4
	s_subb_u32 s4, 0, s5
	s_mul_i32 s4, s4, 7
	s_mul_hi_u32 s33, s52, 7
	s_add_i32 s33, s33, s4
	s_mul_i32 s52, s52, 7
	s_waitcnt lgkmcnt(0)
	s_mul_i32 s4, s22, s33
	s_mul_hi_u32 s5, s22, s52
	s_add_i32 s4, s5, s4
	s_mul_i32 s5, s23, s52
	s_add_i32 s35, s4, s5
	s_mul_i32 s4, s10, s33
	s_mul_hi_u32 s5, s10, s52
	v_cmp_lt_u64_e64 s[38:39], s[18:19], 3
	s_add_i32 s4, s5, s4
	s_mul_i32 s5, s11, s52
	s_mul_i32 s34, s22, s52
	s_add_i32 s5, s4, s5
	s_mul_i32 s4, s10, s52
	s_and_b64 vcc, exec, s[38:39]
	s_cbranch_vccnz .LBB0_12
; %bb.3:
	s_add_u32 s38, s30, 16
	s_addc_u32 s39, s31, 0
	s_add_u32 s40, s2, 16
	s_addc_u32 s41, s3, 0
	s_add_u32 s42, s0, 16
	v_mov_b32_e32 v1, s18
	s_addc_u32 s43, s1, 0
	s_mov_b64 s[44:45], 2
	s_mov_b32 s46, 0
	v_mov_b32_e32 v2, s19
.LBB0_4:                                ; =>This Inner Loop Header: Depth=1
	s_load_dwordx2 s[48:49], s[42:43], 0x0
	s_waitcnt lgkmcnt(0)
	s_or_b64 s[0:1], s[24:25], s[48:49]
	s_mov_b32 s47, s1
	s_cmp_lg_u64 s[46:47], 0
	s_cbranch_scc0 .LBB0_9
; %bb.5:                                ;   in Loop: Header=BB0_4 Depth=1
	v_cvt_f32_u32_e32 v3, s48
	v_cvt_f32_u32_e32 v4, s49
	s_sub_u32 s0, 0, s48
	s_subb_u32 s1, 0, s49
	v_mac_f32_e32 v3, 0x4f800000, v4
	v_rcp_f32_e32 v3, v3
	v_mul_f32_e32 v3, 0x5f7ffffc, v3
	v_mul_f32_e32 v4, 0x2f800000, v3
	v_trunc_f32_e32 v4, v4
	v_mac_f32_e32 v3, 0xcf800000, v4
	v_cvt_u32_f32_e32 v4, v4
	v_cvt_u32_f32_e32 v3, v3
	v_readfirstlane_b32 s47, v4
	v_readfirstlane_b32 s50, v3
	s_mul_i32 s51, s0, s47
	s_mul_hi_u32 s54, s0, s50
	s_mul_i32 s53, s1, s50
	s_add_i32 s51, s54, s51
	s_mul_i32 s55, s0, s50
	s_add_i32 s51, s51, s53
	s_mul_hi_u32 s53, s50, s51
	s_mul_i32 s54, s50, s51
	s_mul_hi_u32 s50, s50, s55
	s_add_u32 s50, s50, s54
	s_addc_u32 s53, 0, s53
	s_mul_hi_u32 s56, s47, s55
	s_mul_i32 s55, s47, s55
	s_add_u32 s50, s50, s55
	s_mul_hi_u32 s54, s47, s51
	s_addc_u32 s50, s53, s56
	s_addc_u32 s53, s54, 0
	s_mul_i32 s51, s47, s51
	s_add_u32 s50, s50, s51
	s_addc_u32 s51, 0, s53
	v_add_co_u32_e32 v3, vcc, s50, v3
	s_cmp_lg_u64 vcc, 0
	s_addc_u32 s47, s47, s51
	v_readfirstlane_b32 s51, v3
	s_mul_i32 s50, s0, s47
	s_mul_hi_u32 s53, s0, s51
	s_add_i32 s50, s53, s50
	s_mul_i32 s1, s1, s51
	s_add_i32 s50, s50, s1
	s_mul_i32 s0, s0, s51
	s_mul_hi_u32 s53, s47, s0
	s_mul_i32 s54, s47, s0
	s_mul_i32 s56, s51, s50
	s_mul_hi_u32 s0, s51, s0
	s_mul_hi_u32 s55, s51, s50
	s_add_u32 s0, s0, s56
	s_addc_u32 s51, 0, s55
	s_add_u32 s0, s0, s54
	s_mul_hi_u32 s1, s47, s50
	s_addc_u32 s0, s51, s53
	s_addc_u32 s1, s1, 0
	s_mul_i32 s50, s47, s50
	s_add_u32 s0, s0, s50
	s_addc_u32 s1, 0, s1
	v_add_co_u32_e32 v3, vcc, s0, v3
	s_cmp_lg_u64 vcc, 0
	s_addc_u32 s0, s47, s1
	v_readfirstlane_b32 s50, v3
	s_mul_i32 s47, s24, s0
	s_mul_hi_u32 s51, s24, s50
	s_mul_hi_u32 s1, s24, s0
	s_add_u32 s47, s51, s47
	s_addc_u32 s1, 0, s1
	s_mul_hi_u32 s53, s25, s50
	s_mul_i32 s50, s25, s50
	s_add_u32 s47, s47, s50
	s_mul_hi_u32 s51, s25, s0
	s_addc_u32 s1, s1, s53
	s_addc_u32 s47, s51, 0
	s_mul_i32 s0, s25, s0
	s_add_u32 s50, s1, s0
	s_addc_u32 s47, 0, s47
	s_mul_i32 s0, s48, s47
	s_mul_hi_u32 s1, s48, s50
	s_add_i32 s0, s1, s0
	s_mul_i32 s1, s49, s50
	s_add_i32 s51, s0, s1
	s_mul_i32 s1, s48, s50
	v_mov_b32_e32 v3, s1
	s_sub_i32 s0, s25, s51
	v_sub_co_u32_e32 v3, vcc, s24, v3
	s_cmp_lg_u64 vcc, 0
	s_subb_u32 s53, s0, s49
	v_subrev_co_u32_e64 v4, s[0:1], s48, v3
	s_cmp_lg_u64 s[0:1], 0
	s_subb_u32 s0, s53, 0
	s_cmp_ge_u32 s0, s49
	v_readfirstlane_b32 s53, v4
	s_cselect_b32 s1, -1, 0
	s_cmp_ge_u32 s53, s48
	s_cselect_b32 s53, -1, 0
	s_cmp_eq_u32 s0, s49
	s_cselect_b32 s0, s53, s1
	s_add_u32 s1, s50, 1
	s_addc_u32 s53, s47, 0
	s_add_u32 s54, s50, 2
	s_addc_u32 s55, s47, 0
	s_cmp_lg_u32 s0, 0
	s_cselect_b32 s0, s54, s1
	s_cselect_b32 s1, s55, s53
	s_cmp_lg_u64 vcc, 0
	s_subb_u32 s51, s25, s51
	s_cmp_ge_u32 s51, s49
	v_readfirstlane_b32 s54, v3
	s_cselect_b32 s53, -1, 0
	s_cmp_ge_u32 s54, s48
	s_cselect_b32 s54, -1, 0
	s_cmp_eq_u32 s51, s49
	s_cselect_b32 s51, s54, s53
	s_cmp_lg_u32 s51, 0
	s_cselect_b32 s1, s1, s47
	s_cselect_b32 s0, s0, s50
	s_cbranch_execnz .LBB0_7
.LBB0_6:                                ;   in Loop: Header=BB0_4 Depth=1
	v_cvt_f32_u32_e32 v3, s48
	s_sub_i32 s0, 0, s48
	v_rcp_iflag_f32_e32 v3, v3
	v_mul_f32_e32 v3, 0x4f7ffffe, v3
	v_cvt_u32_f32_e32 v3, v3
	v_readfirstlane_b32 s1, v3
	s_mul_i32 s0, s0, s1
	s_mul_hi_u32 s0, s1, s0
	s_add_i32 s1, s1, s0
	s_mul_hi_u32 s0, s24, s1
	s_mul_i32 s47, s0, s48
	s_sub_i32 s47, s24, s47
	s_add_i32 s1, s0, 1
	s_sub_i32 s50, s47, s48
	s_cmp_ge_u32 s47, s48
	s_cselect_b32 s0, s1, s0
	s_cselect_b32 s47, s50, s47
	s_add_i32 s1, s0, 1
	s_cmp_ge_u32 s47, s48
	s_cselect_b32 s0, s1, s0
	s_mov_b32 s1, s46
.LBB0_7:                                ;   in Loop: Header=BB0_4 Depth=1
	s_mul_i32 s37, s48, s37
	s_mul_hi_u32 s47, s48, s36
	s_add_i32 s37, s47, s37
	s_mul_i32 s47, s49, s36
	s_add_i32 s37, s37, s47
	s_mul_i32 s47, s0, s49
	s_mul_hi_u32 s49, s0, s48
	s_load_dwordx2 s[50:51], s[40:41], 0x0
	s_add_i32 s47, s49, s47
	s_mul_i32 s49, s1, s48
	s_mul_i32 s36, s48, s36
	s_add_i32 s47, s47, s49
	s_mul_i32 s48, s0, s48
	s_sub_u32 s48, s24, s48
	s_subb_u32 s47, s25, s47
	s_waitcnt lgkmcnt(0)
	s_mul_i32 s24, s50, s47
	s_mul_hi_u32 s25, s50, s48
	s_add_i32 s49, s25, s24
	s_load_dwordx2 s[24:25], s[38:39], 0x0
	s_mul_i32 s51, s51, s48
	s_add_i32 s49, s49, s51
	s_mul_i32 s50, s50, s48
	s_add_u32 s34, s50, s34
	s_addc_u32 s35, s49, s35
	s_waitcnt lgkmcnt(0)
	s_mul_i32 s47, s24, s47
	s_mul_hi_u32 s49, s24, s48
	s_add_i32 s47, s49, s47
	s_mul_i32 s25, s25, s48
	s_add_i32 s47, s47, s25
	s_mul_i32 s24, s24, s48
	s_add_u32 s4, s24, s4
	s_addc_u32 s5, s47, s5
	s_add_u32 s44, s44, 1
	s_addc_u32 s45, s45, 0
	;; [unrolled: 2-line block ×4, first 2 shown]
	v_cmp_ge_u64_e32 vcc, s[44:45], v[1:2]
	s_add_u32 s42, s42, 8
	s_addc_u32 s43, s43, 0
	s_cbranch_vccnz .LBB0_10
; %bb.8:                                ;   in Loop: Header=BB0_4 Depth=1
	s_mov_b64 s[24:25], s[0:1]
	s_branch .LBB0_4
.LBB0_9:                                ;   in Loop: Header=BB0_4 Depth=1
                                        ; implicit-def: $sgpr0_sgpr1
	s_branch .LBB0_6
.LBB0_10:
	v_mov_b32_e32 v1, s36
	v_mov_b32_e32 v2, s37
	v_cmp_lt_u64_e32 vcc, s[6:7], v[1:2]
	s_mov_b64 s[24:25], 0
	s_cbranch_vccnz .LBB0_12
; %bb.11:
	v_cvt_f32_u32_e32 v1, s36
	s_sub_i32 s0, 0, s36
	v_rcp_iflag_f32_e32 v1, v1
	v_mul_f32_e32 v1, 0x4f7ffffe, v1
	v_cvt_u32_f32_e32 v1, v1
	v_readfirstlane_b32 s1, v1
	s_mul_i32 s0, s0, s1
	s_mul_hi_u32 s0, s1, s0
	s_add_i32 s1, s1, s0
	s_mul_hi_u32 s0, s6, s1
	s_mul_i32 s7, s0, s36
	s_sub_i32 s6, s6, s7
	s_add_i32 s1, s0, 1
	s_sub_i32 s7, s6, s36
	s_cmp_ge_u32 s6, s36
	s_cselect_b32 s0, s1, s0
	s_cselect_b32 s6, s7, s6
	s_add_i32 s1, s0, 1
	s_cmp_ge_u32 s6, s36
	s_cselect_b32 s24, s1, s0
.LBB0_12:
	v_mul_u32_u24_e32 v1, 0x2493, v0
	s_lshl_b64 s[36:37], s[18:19], 3
	v_lshrrev_b32_e32 v3, 16, v1
	s_add_u32 s18, s30, s36
	v_mul_lo_u16_e32 v1, 7, v3
	s_addc_u32 s19, s31, s37
	v_sub_u16_e32 v4, v0, v1
	v_mov_b32_e32 v2, s33
	v_add_co_u32_e32 v1, vcc, s52, v4
	s_add_u32 s0, s52, 7
	v_mov_b32_e32 v5, s28
	v_addc_co_u32_e32 v2, vcc, 0, v2, vcc
	s_addc_u32 s1, s33, 0
	v_mov_b32_e32 v6, s29
	v_cmp_le_u64_e32 vcc, s[0:1], v[5:6]
	v_cmp_gt_u64_e64 s[0:1], s[28:29], v[1:2]
                                        ; implicit-def: $vgpr32
                                        ; implicit-def: $vgpr26
                                        ; implicit-def: $vgpr36
                                        ; implicit-def: $vgpr31
                                        ; implicit-def: $vgpr34
                                        ; implicit-def: $vgpr23
                                        ; implicit-def: $vgpr29
                                        ; implicit-def: $vgpr19
                                        ; implicit-def: $vgpr25
                                        ; implicit-def: $vgpr15
                                        ; implicit-def: $vgpr21
                                        ; implicit-def: $vgpr10
                                        ; implicit-def: $vgpr17
                                        ; implicit-def: $vgpr6
                                        ; implicit-def: $vgpr13
                                        ; implicit-def: $vgpr2
                                        ; implicit-def: $vgpr8
                                        ; implicit-def: $vgpr5
                                        ; implicit-def: $vgpr38
                                        ; implicit-def: $vgpr37
                                        ; implicit-def: $vgpr35
                                        ; implicit-def: $vgpr33
                                        ; implicit-def: $vgpr30
                                        ; implicit-def: $vgpr28
                                        ; implicit-def: $vgpr27
                                        ; implicit-def: $vgpr24
                                        ; implicit-def: $vgpr22
                                        ; implicit-def: $vgpr20
                                        ; implicit-def: $vgpr18
                                        ; implicit-def: $vgpr16
                                        ; implicit-def: $vgpr14
                                        ; implicit-def: $vgpr12
                                        ; implicit-def: $vgpr9
                                        ; implicit-def: $vgpr7
	s_or_b64 s[6:7], vcc, s[0:1]
	s_and_saveexec_b64 s[0:1], s[6:7]
	s_cbranch_execz .LBB0_14
; %bb.13:
	s_add_u32 s2, s2, s36
	s_addc_u32 s3, s3, s37
	s_load_dwordx2 s[2:3], s[2:3], 0x0
	v_mad_u64_u32 v[5:6], s[28:29], s22, v4, 0
	v_mad_u64_u32 v[7:8], s[28:29], s20, v3, 0
	s_waitcnt lgkmcnt(0)
	s_mul_i32 s3, s3, s24
	s_mul_hi_u32 s25, s2, s24
	v_mov_b32_e32 v2, v6
	s_add_i32 s3, s25, s3
	s_mul_i32 s2, s2, s24
	v_mad_u64_u32 v[9:10], s[22:23], s23, v4, v[2:3]
	v_mov_b32_e32 v2, v8
	s_lshl_b64 s[2:3], s[2:3], 2
	v_mad_u64_u32 v[10:11], s[22:23], s21, v3, v[2:3]
	s_add_u32 s12, s12, s2
	s_addc_u32 s13, s13, s3
	s_lshl_b64 s[2:3], s[34:35], 2
	s_add_u32 s12, s12, s2
	s_addc_u32 s2, s13, s3
	v_add_u32_e32 v11, 17, v3
	v_mov_b32_e32 v6, v9
	v_mov_b32_e32 v8, v10
	;; [unrolled: 1-line block ×3, first 2 shown]
	v_mad_u64_u32 v[9:10], s[2:3], s20, v11, 0
	v_lshlrev_b64 v[5:6], 2, v[5:6]
	v_add_co_u32_e32 v18, vcc, s12, v5
	v_addc_co_u32_e32 v42, vcc, v2, v6, vcc
	v_mov_b32_e32 v2, v10
	v_lshlrev_b64 v[5:6], 2, v[7:8]
	v_mad_u64_u32 v[7:8], s[2:3], s21, v11, v[2:3]
	v_add_u32_e32 v8, 34, v3
	v_mad_u64_u32 v[11:12], s[2:3], s20, v8, 0
	v_add_co_u32_e32 v13, vcc, v18, v5
	v_mov_b32_e32 v10, v7
	v_mov_b32_e32 v2, v12
	v_addc_co_u32_e32 v14, vcc, v42, v6, vcc
	v_lshlrev_b64 v[5:6], 2, v[9:10]
	v_mad_u64_u32 v[7:8], s[2:3], s21, v8, v[2:3]
	v_add_u32_e32 v10, 51, v3
	v_mad_u64_u32 v[8:9], s[2:3], s20, v10, 0
	v_add_co_u32_e32 v16, vcc, v18, v5
	v_mov_b32_e32 v2, v9
	v_mov_b32_e32 v12, v7
	v_mad_u64_u32 v[9:10], s[2:3], s21, v10, v[2:3]
	v_add_u32_e32 v7, 0x44, v3
	v_addc_co_u32_e32 v17, vcc, v42, v6, vcc
	v_lshlrev_b64 v[5:6], 2, v[11:12]
	v_mad_u64_u32 v[10:11], s[2:3], s20, v7, 0
	v_add_co_u32_e32 v20, vcc, v18, v5
	v_mov_b32_e32 v2, v11
	v_addc_co_u32_e32 v21, vcc, v42, v6, vcc
	v_lshlrev_b64 v[5:6], 2, v[8:9]
	v_mad_u64_u32 v[7:8], s[2:3], s21, v7, v[2:3]
	v_add_u32_e32 v12, 0x55, v3
	v_mad_u64_u32 v[8:9], s[2:3], s20, v12, 0
	v_add_co_u32_e32 v24, vcc, v18, v5
	v_mov_b32_e32 v11, v7
	v_mov_b32_e32 v2, v9
	v_addc_co_u32_e32 v25, vcc, v42, v6, vcc
	v_lshlrev_b64 v[5:6], 2, v[10:11]
	v_mad_u64_u32 v[9:10], s[2:3], s21, v12, v[2:3]
	v_add_u32_e32 v7, 0x66, v3
	v_mad_u64_u32 v[10:11], s[2:3], s20, v7, 0
	v_add_co_u32_e32 v27, vcc, v18, v5
	v_mov_b32_e32 v2, v11
	v_addc_co_u32_e32 v28, vcc, v42, v6, vcc
	v_lshlrev_b64 v[5:6], 2, v[8:9]
	v_mad_u64_u32 v[7:8], s[2:3], s21, v7, v[2:3]
	v_add_u32_e32 v12, 0x77, v3
	v_mad_u64_u32 v[8:9], s[2:3], s20, v12, 0
	v_add_co_u32_e32 v29, vcc, v18, v5
	v_mov_b32_e32 v11, v7
	v_mov_b32_e32 v2, v9
	v_addc_co_u32_e32 v30, vcc, v42, v6, vcc
	v_lshlrev_b64 v[5:6], 2, v[10:11]
	v_mad_u64_u32 v[9:10], s[2:3], s21, v12, v[2:3]
	v_add_co_u32_e32 v11, vcc, v18, v5
	v_addc_co_u32_e32 v12, vcc, v42, v6, vcc
	v_lshlrev_b64 v[5:6], 2, v[8:9]
	v_add_u32_e32 v9, 0x88, v3
	v_mad_u64_u32 v[7:8], s[2:3], s20, v9, 0
	v_add_co_u32_e32 v32, vcc, v18, v5
	v_mov_b32_e32 v2, v8
	v_addc_co_u32_e32 v33, vcc, v42, v6, vcc
	v_mad_u64_u32 v[5:6], s[2:3], s21, v9, v[2:3]
	global_load_dword v26, v[13:14], off
	global_load_dword v31, v[16:17], off
	;; [unrolled: 1-line block ×8, first 2 shown]
	v_add_u32_e32 v9, 0x99, v3
	v_mad_u64_u32 v[34:35], s[2:3], s20, v9, 0
	v_mov_b32_e32 v8, v5
	v_lshlrev_b64 v[7:8], 2, v[7:8]
	v_mov_b32_e32 v5, v35
	v_add_co_u32_e32 v16, vcc, v18, v7
	v_addc_co_u32_e32 v17, vcc, v42, v8, vcc
	s_waitcnt vmcnt(7)
	v_lshrrev_b32_e32 v32, 16, v26
	s_waitcnt vmcnt(1)
	v_mad_u64_u32 v[11:12], s[2:3], s21, v9, v[5:6]
	v_add_u32_e32 v9, 0xaa, v3
	v_mad_u64_u32 v[12:13], s[2:3], s20, v9, 0
	v_mov_b32_e32 v35, v11
	v_lshlrev_b64 v[7:8], 2, v[34:35]
	v_mov_b32_e32 v5, v13
	v_mad_u64_u32 v[13:14], s[2:3], s21, v9, v[5:6]
	v_add_u32_e32 v9, 0xbb, v3
	v_mad_u64_u32 v[20:21], s[2:3], s20, v9, 0
	v_add_co_u32_e32 v24, vcc, v18, v7
	v_mov_b32_e32 v5, v21
	v_addc_co_u32_e32 v25, vcc, v42, v8, vcc
	v_lshlrev_b64 v[7:8], 2, v[12:13]
	v_mad_u64_u32 v[11:12], s[2:3], s21, v9, v[5:6]
	v_add_u32_e32 v9, 0xcc, v3
	v_mad_u64_u32 v[12:13], s[2:3], s20, v9, 0
	v_add_co_u32_e32 v29, vcc, v18, v7
	v_mov_b32_e32 v5, v13
	v_mov_b32_e32 v21, v11
	v_mad_u64_u32 v[13:14], s[2:3], s21, v9, v[5:6]
	v_add_u32_e32 v9, 0xdd, v3
	v_addc_co_u32_e32 v30, vcc, v42, v8, vcc
	v_lshlrev_b64 v[7:8], 2, v[20:21]
	v_mad_u64_u32 v[20:21], s[2:3], s20, v9, 0
	v_add_co_u32_e32 v34, vcc, v18, v7
	v_mov_b32_e32 v5, v21
	v_addc_co_u32_e32 v35, vcc, v42, v8, vcc
	v_lshlrev_b64 v[7:8], 2, v[12:13]
	v_mad_u64_u32 v[11:12], s[2:3], s21, v9, v[5:6]
	v_add_u32_e32 v9, 0xee, v3
	v_mad_u64_u32 v[12:13], s[2:3], s20, v9, 0
	v_add_co_u32_e32 v36, vcc, v18, v7
	v_mov_b32_e32 v5, v13
	v_mov_b32_e32 v21, v11
	v_mad_u64_u32 v[13:14], s[2:3], s21, v9, v[5:6]
	v_add_u32_e32 v9, 0xff, v3
	v_addc_co_u32_e32 v37, vcc, v42, v8, vcc
	v_lshlrev_b64 v[7:8], 2, v[20:21]
	v_mad_u64_u32 v[20:21], s[2:3], s20, v9, 0
	v_add_co_u32_e32 v38, vcc, v18, v7
	v_mov_b32_e32 v5, v21
	v_addc_co_u32_e32 v39, vcc, v42, v8, vcc
	v_lshlrev_b64 v[7:8], 2, v[12:13]
	v_mad_u64_u32 v[11:12], s[2:3], s21, v9, v[5:6]
	v_add_co_u32_e32 v13, vcc, v18, v7
	v_mov_b32_e32 v21, v11
	v_add_u32_e32 v9, 0x110, v3
	v_addc_co_u32_e32 v14, vcc, v42, v8, vcc
	v_lshlrev_b64 v[7:8], 2, v[20:21]
	v_mad_u64_u32 v[21:22], s[2:3], s20, v9, 0
	v_add_co_u32_e32 v40, vcc, v18, v7
	v_addc_co_u32_e32 v41, vcc, v42, v8, vcc
	v_mov_b32_e32 v8, v22
	v_mad_u64_u32 v[8:9], s[2:3], s21, v9, v[8:9]
	global_load_dword v5, v[16:17], off
	global_load_dword v7, v[24:25], off
	;; [unrolled: 1-line block ×3, first 2 shown]
	s_nop 0
	global_load_dword v16, v[34:35], off
	global_load_dword v20, v[36:37], off
	;; [unrolled: 1-line block ×5, first 2 shown]
	v_mov_b32_e32 v22, v8
	v_lshlrev_b64 v[8:9], 2, v[21:22]
	v_lshrrev_b32_e32 v36, 16, v31
	v_add_co_u32_e32 v8, vcc, v18, v8
	v_addc_co_u32_e32 v9, vcc, v42, v9, vcc
	global_load_dword v37, v[8:9], off
	v_lshrrev_b32_e32 v34, 16, v23
	v_lshrrev_b32_e32 v29, 16, v19
	;; [unrolled: 1-line block ×5, first 2 shown]
	s_waitcnt vmcnt(9)
	v_lshrrev_b32_e32 v13, 16, v2
	s_waitcnt vmcnt(6)
	v_lshrrev_b32_e32 v14, 16, v12
	;; [unrolled: 2-line block ×4, first 2 shown]
	v_lshrrev_b32_e32 v8, 16, v5
	v_lshrrev_b32_e32 v9, 16, v7
	s_waitcnt vmcnt(3)
	v_lshrrev_b32_e32 v27, 16, v24
	s_waitcnt vmcnt(2)
	;; [unrolled: 2-line block ×4, first 2 shown]
	v_lshrrev_b32_e32 v38, 16, v37
.LBB0_14:
	s_or_b64 exec, exec, s[0:1]
	v_add_f16_e32 v11, v26, v31
	v_add_f16_e32 v39, v32, v36
	;; [unrolled: 1-line block ×31, first 2 shown]
	v_add_f16_sdwa v39, v38, v39 dst_sel:WORD_1 dst_unused:UNUSED_PAD src0_sel:DWORD src1_sel:DWORD
	v_or_b32_e32 v11, v39, v11
	v_add_f16_e32 v39, v31, v37
	v_sub_f16_e32 v31, v31, v37
	v_add_f16_e32 v37, v36, v38
	v_sub_f16_e32 v36, v36, v38
	s_movk_i32 s36, 0x35c8
	s_mov_b32 s2, 0xb5c8
	v_mul_f16_e32 v38, 0x3b76, v39
	s_movk_i32 s39, 0x3964
	s_mov_b32 s3, 0xb964
	v_mul_f16_e32 v41, 0x39e9, v39
	;; [unrolled: 3-line block ×7, first 2 shown]
	v_mul_f16_e32 v39, 0xbbdd, v39
	s_movk_i32 s41, 0x31e1
	s_mov_b32 s25, 0xb1e1
	v_fma_f16 v40, v36, s36, v38
	v_fma_f16 v38, v36, s2, v38
	;; [unrolled: 1-line block ×16, first 2 shown]
	v_add_f16_e32 v39, v26, v40
	v_add_f16_e32 v38, v26, v38
	v_add_f16_e32 v40, v26, v42
	v_add_f16_e32 v41, v26, v41
	v_add_f16_e32 v42, v26, v44
	v_add_f16_e32 v43, v26, v43
	v_add_f16_e32 v44, v26, v46
	v_add_f16_e32 v45, v26, v45
	v_add_f16_e32 v46, v26, v48
	v_add_f16_e32 v47, v26, v47
	v_add_f16_e32 v48, v26, v50
	v_add_f16_e32 v49, v26, v49
	v_add_f16_e32 v50, v26, v52
	v_add_f16_e32 v51, v26, v51
	v_add_f16_e32 v52, v26, v53
	v_add_f16_e32 v26, v26, v36
	s_movk_i32 s23, 0x3b76
	v_mul_f16_e32 v36, 0xb5c8, v31
	s_movk_i32 s28, 0x39e9
	v_mul_f16_e32 v54, 0xb964, v31
	;; [unrolled: 2-line block ×4, first 2 shown]
	s_mov_b32 s31, 0xb461
	v_mul_f16_e32 v60, 0xbbb2, v31
	s_mov_b32 s33, 0xb8d2
	v_mul_f16_e32 v62, 0xba62, v31
	;; [unrolled: 2-line block ×4, first 2 shown]
	v_fma_f16 v53, v37, s23, v36
	v_fma_f16 v36, v37, s23, -v36
	v_fma_f16 v55, v37, s28, v54
	v_fma_f16 v54, v37, s28, -v54
	;; [unrolled: 2-line block ×8, first 2 shown]
	v_add_f16_e32 v37, v32, v53
	v_add_f16_e32 v36, v32, v36
	;; [unrolled: 1-line block ×17, first 2 shown]
	v_sub_f16_e32 v23, v23, v33
	v_add_f16_e32 v33, v34, v35
	v_sub_f16_e32 v34, v34, v35
	v_mul_f16_e32 v35, 0x39e9, v32
	v_fma_f16 v66, v34, s39, v35
	v_add_f16_e32 v39, v39, v66
	v_mul_f16_e32 v66, 0xb964, v23
	v_fma_f16 v35, v34, s3, v35
	v_add_f16_e32 v35, v38, v35
	v_fma_f16 v38, v33, s28, -v66
	v_add_f16_e32 v36, v36, v38
	v_mul_f16_e32 v38, 0x2de8, v32
	v_fma_f16 v67, v33, s28, v66
	v_fma_f16 v66, v34, s43, v38
	v_add_f16_e32 v40, v40, v66
	v_mul_f16_e32 v66, 0xbbf7, v23
	v_fma_f16 v38, v34, s13, v38
	v_add_f16_e32 v38, v41, v38
	v_fma_f16 v41, v33, s30, -v66
	v_add_f16_e32 v41, v54, v41
	v_mul_f16_e32 v54, 0xb8d2, v32
	v_add_f16_e32 v37, v37, v67
	v_fma_f16 v67, v33, s30, v66
	v_fma_f16 v66, v34, s42, v54
	v_add_f16_e32 v42, v42, v66
	v_mul_f16_e32 v66, 0xba62, v23
	v_fma_f16 v54, v34, s21, v54
	v_add_f16_e32 v43, v43, v54
	v_fma_f16 v54, v33, s33, -v66
	v_add_f16_e32 v54, v56, v54
	v_mul_f16_e32 v56, 0xbbdd, v32
	v_add_f16_e32 v53, v53, v67
	;; [unrolled: 10-line block ×5, first 2 shown]
	v_fma_f16 v67, v33, s31, v66
	v_fma_f16 v66, v34, s12, v62
	v_add_f16_e32 v50, v50, v66
	v_mul_f16_e32 v66, 0x3b29, v23
	v_fma_f16 v62, v34, s37, v62
	v_add_f16_e32 v51, v51, v62
	v_fma_f16 v62, v33, s29, -v66
	v_mul_f16_e32 v32, 0x3b76, v32
	v_add_f16_e32 v62, v64, v62
	v_fma_f16 v64, v34, s2, v32
	v_mul_f16_e32 v23, 0x35c8, v23
	v_add_f16_e32 v52, v52, v64
	v_fma_f16 v64, v33, s23, v23
	v_fma_f16 v23, v33, s23, -v23
	v_add_f16_e32 v23, v31, v23
	v_add_f16_e32 v31, v19, v28
	v_fma_f16 v32, v34, s36, v32
	v_sub_f16_e32 v19, v19, v28
	v_add_f16_e32 v28, v29, v30
	v_sub_f16_e32 v29, v29, v30
	v_mul_f16_e32 v30, 0x3722, v31
	v_add_f16_e32 v61, v61, v67
	v_fma_f16 v67, v33, s29, v66
	v_add_f16_e32 v26, v26, v32
	v_fma_f16 v32, v29, s37, v30
	v_mul_f16_e32 v33, 0xbb29, v19
	v_fma_f16 v30, v29, s12, v30
	v_fma_f16 v34, v28, s29, v33
	v_add_f16_e32 v30, v35, v30
	v_fma_f16 v33, v28, s29, -v33
	v_mul_f16_e32 v35, 0xb8d2, v31
	v_add_f16_e32 v33, v36, v33
	v_fma_f16 v36, v29, s42, v35
	v_fma_f16 v35, v29, s21, v35
	v_add_f16_e32 v35, v38, v35
	v_mul_f16_e32 v38, 0xbbdd, v31
	v_add_f16_e32 v34, v37, v34
	v_add_f16_e32 v36, v40, v36
	v_mul_f16_e32 v37, 0xba62, v19
	v_fma_f16 v40, v29, s25, v38
	v_fma_f16 v38, v29, s41, v38
	v_add_f16_e32 v32, v39, v32
	v_fma_f16 v39, v28, s33, v37
	v_fma_f16 v37, v28, s33, -v37
	v_add_f16_e32 v38, v43, v38
	v_mul_f16_e32 v43, 0xb461, v31
	v_add_f16_e32 v39, v53, v39
	v_add_f16_e32 v37, v41, v37
	v_mul_f16_e32 v41, 0x31e1, v19
	v_fma_f16 v53, v29, s20, v43
	v_add_f16_e32 v40, v42, v40
	v_fma_f16 v42, v28, s35, v41
	v_fma_f16 v41, v28, s35, -v41
	v_add_f16_e32 v44, v44, v53
	v_mul_f16_e32 v53, 0x3bb2, v19
	v_fma_f16 v43, v29, s38, v43
	v_add_f16_e32 v41, v54, v41
	v_fma_f16 v54, v28, s31, v53
	v_add_f16_e32 v43, v45, v43
	v_fma_f16 v45, v28, s31, -v53
	v_mul_f16_e32 v53, 0x39e9, v31
	v_add_f16_e32 v42, v55, v42
	v_fma_f16 v55, v29, s3, v53
	v_add_f16_e32 v46, v46, v55
	v_mul_f16_e32 v55, 0x3964, v19
	v_fma_f16 v53, v29, s39, v53
	v_add_f16_e32 v45, v56, v45
	v_fma_f16 v56, v28, s28, v55
	v_add_f16_e32 v47, v47, v53
	v_fma_f16 v53, v28, s28, -v55
	v_mul_f16_e32 v55, 0x3b76, v31
	v_add_f16_e32 v54, v57, v54
	v_fma_f16 v57, v29, s36, v55
	;; [unrolled: 10-line block ×3, first 2 shown]
	v_add_f16_e32 v50, v50, v59
	v_mul_f16_e32 v59, 0xbbf7, v19
	v_fma_f16 v57, v29, s13, v57
	v_mul_f16_e32 v31, 0xbacd, v31
	v_add_f16_e32 v55, v60, v55
	v_fma_f16 v60, v28, s30, v59
	v_add_f16_e32 v51, v51, v57
	v_fma_f16 v57, v28, s30, -v59
	v_fma_f16 v59, v29, s40, v31
	v_mul_f16_e32 v19, 0xb836, v19
	v_add_f16_e32 v52, v52, v59
	v_fma_f16 v59, v28, s34, v19
	v_fma_f16 v19, v28, s34, -v19
	v_add_f16_e32 v19, v23, v19
	v_add_f16_e32 v23, v15, v24
	v_fma_f16 v29, v29, s22, v31
	v_sub_f16_e32 v15, v15, v24
	v_add_f16_e32 v24, v25, v27
	v_sub_f16_e32 v25, v25, v27
	v_mul_f16_e32 v27, 0x2de8, v23
	v_add_f16_e32 v26, v26, v29
	v_fma_f16 v28, v25, s43, v27
	v_mul_f16_e32 v29, 0xbbf7, v15
	v_fma_f16 v27, v25, s13, v27
	v_fma_f16 v31, v24, s30, v29
	v_add_f16_e32 v27, v30, v27
	v_fma_f16 v29, v24, s30, -v29
	v_mul_f16_e32 v30, 0xbbdd, v23
	v_add_f16_e32 v28, v32, v28
	v_add_f16_e32 v29, v33, v29
	v_fma_f16 v32, v25, s41, v30
	v_mul_f16_e32 v33, 0xb1e1, v15
	v_fma_f16 v30, v25, s25, v30
	v_add_f16_e32 v31, v34, v31
	v_fma_f16 v34, v24, s35, v33
	v_add_f16_e32 v30, v35, v30
	v_fma_f16 v33, v24, s35, -v33
	v_mul_f16_e32 v35, 0xb461, v23
	v_add_f16_e32 v32, v36, v32
	v_add_f16_e32 v33, v37, v33
	v_fma_f16 v36, v25, s20, v35
	v_mul_f16_e32 v37, 0x3bb2, v15
	v_fma_f16 v35, v25, s38, v35
	v_add_f16_e32 v34, v39, v34
	;; [unrolled: 10-line block ×4, first 2 shown]
	v_fma_f16 v46, v24, s29, v45
	v_add_f16_e32 v43, v47, v43
	v_fma_f16 v45, v24, s29, -v45
	v_mul_f16_e32 v47, 0xbacd, v23
	v_add_f16_e32 v45, v53, v45
	v_fma_f16 v53, v25, s40, v47
	v_add_f16_e32 v48, v48, v53
	v_mul_f16_e32 v53, 0xb836, v15
	v_fma_f16 v47, v25, s22, v47
	v_add_f16_e32 v42, v54, v42
	v_fma_f16 v54, v24, s34, v53
	v_add_f16_e32 v47, v49, v47
	v_fma_f16 v49, v24, s34, -v53
	v_mul_f16_e32 v53, 0xb8d2, v23
	v_add_f16_e32 v49, v55, v49
	v_fma_f16 v55, v25, s21, v53
	v_add_f16_e32 v50, v50, v55
	v_mul_f16_e32 v55, 0x3a62, v15
	v_fma_f16 v53, v25, s42, v53
	v_mul_f16_e32 v23, 0x39e9, v23
	v_add_f16_e32 v46, v56, v46
	v_fma_f16 v56, v24, s33, v55
	v_add_f16_e32 v51, v51, v53
	v_fma_f16 v53, v24, s33, -v55
	v_fma_f16 v55, v25, s3, v23
	v_mul_f16_e32 v15, 0x3964, v15
	v_add_f16_e32 v52, v52, v55
	v_fma_f16 v55, v24, s28, v15
	v_fma_f16 v15, v24, s28, -v15
	v_add_f16_e32 v15, v19, v15
	v_add_f16_e32 v19, v10, v20
	v_sub_f16_e32 v10, v10, v20
	v_add_f16_e32 v20, v21, v22
	v_sub_f16_e32 v21, v21, v22
	v_mul_f16_e32 v22, 0xb461, v19
	v_fma_f16 v24, v21, s38, v22
	v_fma_f16 v22, v21, s20, v22
	;; [unrolled: 1-line block ×3, first 2 shown]
	v_mul_f16_e32 v25, 0xbbb2, v10
	v_add_f16_e32 v22, v27, v22
	v_mul_f16_e32 v27, 0xbacd, v19
	v_add_f16_e32 v23, v26, v23
	v_add_f16_e32 v24, v28, v24
	v_fma_f16 v26, v20, s31, v25
	v_fma_f16 v25, v20, s31, -v25
	v_fma_f16 v28, v21, s22, v27
	v_fma_f16 v27, v21, s40, v27
	v_add_f16_e32 v25, v29, v25
	v_mul_f16_e32 v29, 0x3836, v10
	v_add_f16_e32 v27, v30, v27
	v_mul_f16_e32 v30, 0x39e9, v19
	v_add_f16_e32 v26, v31, v26
	v_add_f16_e32 v28, v32, v28
	v_fma_f16 v31, v20, s34, v29
	v_fma_f16 v29, v20, s34, -v29
	v_fma_f16 v32, v21, s3, v30
	v_fma_f16 v30, v21, s39, v30
	v_add_f16_e32 v29, v33, v29
	;; [unrolled: 10-line block ×5, first 2 shown]
	v_mul_f16_e32 v45, 0x3bf7, v10
	v_add_f16_e32 v43, v47, v43
	v_mul_f16_e32 v47, 0x3b76, v19
	v_add_f16_e32 v42, v46, v42
	v_add_f16_e32 v44, v48, v44
	v_fma_f16 v46, v20, s30, v45
	v_fma_f16 v45, v20, s30, -v45
	v_fma_f16 v48, v21, s36, v47
	v_fma_f16 v47, v21, s2, v47
	v_mul_f16_e32 v19, 0xb8d2, v19
	v_add_f16_e32 v45, v49, v45
	v_mul_f16_e32 v49, 0xb5c8, v10
	v_add_f16_e32 v47, v51, v47
	v_fma_f16 v51, v21, s42, v19
	v_mul_f16_e32 v10, 0xba62, v10
	v_add_f16_e32 v51, v52, v51
	v_fma_f16 v52, v20, s33, v10
	v_fma_f16 v10, v20, s33, -v10
	v_add_f16_e32 v10, v15, v10
	v_add_f16_e32 v15, v6, v16
	v_sub_f16_e32 v6, v6, v16
	v_add_f16_e32 v16, v17, v18
	v_sub_f16_e32 v17, v17, v18
	v_mul_f16_e32 v18, 0xb8d2, v15
	v_add_f16_e32 v48, v50, v48
	v_fma_f16 v50, v20, s23, v49
	v_fma_f16 v49, v20, s23, -v49
	v_fma_f16 v19, v21, s21, v19
	v_fma_f16 v20, v17, s42, v18
	v_mul_f16_e32 v21, 0xba62, v6
	v_fma_f16 v18, v17, s21, v18
	v_add_f16_e32 v19, v23, v19
	v_fma_f16 v23, v16, s33, v21
	v_add_f16_e32 v18, v22, v18
	v_fma_f16 v21, v16, s33, -v21
	v_mul_f16_e32 v22, 0xb461, v15
	v_add_f16_e32 v20, v24, v20
	v_add_f16_e32 v21, v25, v21
	v_fma_f16 v24, v17, s20, v22
	v_mul_f16_e32 v25, 0x3bb2, v6
	v_fma_f16 v22, v17, s38, v22
	v_add_f16_e32 v23, v26, v23
	v_fma_f16 v26, v16, s31, v25
	v_add_f16_e32 v22, v27, v22
	v_fma_f16 v25, v16, s31, -v25
	v_mul_f16_e32 v27, 0x3b76, v15
	v_add_f16_e32 v24, v28, v24
	v_add_f16_e32 v25, v29, v25
	;; [unrolled: 10-line block ×6, first 2 shown]
	v_fma_f16 v44, v17, s41, v43
	v_mul_f16_e32 v45, 0xb1e1, v6
	v_mul_f16_e32 v6, 0x3b29, v6
	v_add_f16_e32 v58, v61, v58
	v_add_f16_e32 v44, v48, v44
	v_fma_f16 v48, v16, s29, v6
	v_fma_f16 v6, v16, s29, -v6
	v_add_f16_e32 v54, v58, v54
	v_add_f16_e32 v6, v10, v6
	;; [unrolled: 1-line block ×4, first 2 shown]
	v_fma_f16 v43, v17, s25, v43
	v_mul_f16_e32 v15, 0x3722, v15
	v_sub_f16_e32 v2, v2, v12
	v_add_f16_e32 v12, v13, v14
	v_sub_f16_e32 v13, v13, v14
	v_mul_f16_e32 v14, 0xbacd, v10
	v_add_f16_e32 v42, v46, v42
	v_fma_f16 v46, v16, s35, v45
	v_add_f16_e32 v43, v47, v43
	v_fma_f16 v45, v16, s35, -v45
	v_fma_f16 v47, v17, s12, v15
	v_fma_f16 v15, v17, s37, v15
	;; [unrolled: 1-line block ×3, first 2 shown]
	v_mul_f16_e32 v17, 0xb836, v2
	v_fma_f16 v14, v13, s22, v14
	v_add_f16_e32 v15, v19, v15
	v_fma_f16 v19, v12, s34, v17
	v_add_f16_e32 v14, v18, v14
	v_fma_f16 v17, v12, s34, -v17
	v_mul_f16_e32 v18, 0x3722, v10
	v_add_f16_e32 v16, v20, v16
	v_add_f16_e32 v17, v21, v17
	v_fma_f16 v20, v13, s12, v18
	v_mul_f16_e32 v21, 0x3b29, v2
	v_fma_f16 v18, v13, s37, v18
	v_add_f16_e32 v19, v23, v19
	v_fma_f16 v23, v12, s29, v21
	v_add_f16_e32 v18, v22, v18
	v_fma_f16 v21, v12, s29, -v21
	v_mul_f16_e32 v22, 0x2de8, v10
	v_add_f16_e32 v20, v24, v20
	v_add_f16_e32 v21, v25, v21
	v_fma_f16 v24, v13, s43, v22
	;; [unrolled: 10-line block ×6, first 2 shown]
	v_mul_f16_e32 v41, 0x3964, v2
	v_mul_f16_e32 v2, 0xbbb2, v2
	v_add_f16_e32 v40, v44, v40
	v_fma_f16 v44, v12, s31, v2
	v_fma_f16 v2, v12, s31, -v2
	v_add_f16_e32 v2, v6, v2
	v_add_f16_e32 v6, v5, v7
	v_fma_f16 v38, v13, s39, v38
	v_mul_f16_e32 v10, 0xb461, v10
	v_sub_f16_e32 v5, v5, v7
	v_add_f16_e32 v7, v8, v9
	v_sub_f16_e32 v8, v8, v9
	v_mul_f16_e32 v9, 0xbbdd, v6
	v_add_f16_e32 v39, v42, v39
	v_fma_f16 v42, v12, s28, v41
	v_add_f16_e32 v38, v43, v38
	v_fma_f16 v41, v12, s28, -v41
	v_fma_f16 v43, v13, s38, v10
	v_fma_f16 v10, v13, s20, v10
	;; [unrolled: 1-line block ×3, first 2 shown]
	v_mul_f16_e32 v13, 0xb1e1, v5
	v_fma_f16 v9, v8, s25, v9
	v_add_f16_e32 v10, v15, v10
	v_fma_f16 v15, v7, s35, v13
	v_add_f16_e32 v9, v14, v9
	v_fma_f16 v13, v7, s35, -v13
	v_mul_f16_e32 v14, 0x3b76, v6
	v_add_f16_e32 v12, v16, v12
	v_add_f16_e32 v13, v17, v13
	v_fma_f16 v16, v8, s2, v14
	v_mul_f16_e32 v17, 0x35c8, v5
	v_fma_f16 v14, v8, s36, v14
	v_add_f16_e32 v15, v19, v15
	v_fma_f16 v19, v7, s23, v17
	v_add_f16_e32 v14, v18, v14
	v_fma_f16 v17, v7, s23, -v17
	v_mul_f16_e32 v18, 0xbacd, v6
	v_add_f16_e32 v16, v20, v16
	v_add_f16_e32 v17, v21, v17
	v_fma_f16 v20, v8, s40, v18
	;; [unrolled: 10-line block ×5, first 2 shown]
	v_mul_f16_e32 v33, 0x3b29, v5
	v_fma_f16 v30, v8, s37, v30
	v_add_f16_e32 v63, v63, v67
	v_add_f16_e32 v31, v34, v31
	v_fma_f16 v34, v7, s29, v33
	v_add_f16_e32 v30, v35, v30
	v_fma_f16 v33, v7, s29, -v33
	v_mul_f16_e32 v35, 0xb461, v6
	v_add_f16_e32 v64, v65, v64
	v_add_f16_e32 v60, v63, v60
	;; [unrolled: 1-line block ×4, first 2 shown]
	v_fma_f16 v36, v8, s38, v35
	v_mul_f16_e32 v37, 0xbbb2, v5
	v_mul_f16_e32 v5, 0x3bf7, v5
	v_add_f16_e32 v59, v64, v59
	v_add_f16_e32 v56, v60, v56
	;; [unrolled: 1-line block ×3, first 2 shown]
	v_fma_f16 v40, v7, s30, v5
	v_fma_f16 v5, v7, s30, -v5
	v_add_f16_e32 v57, v62, v57
	v_add_f16_e32 v55, v59, v55
	;; [unrolled: 1-line block ×4, first 2 shown]
	v_fma_f16 v39, v7, s31, v37
	v_fma_f16 v35, v8, s20, v35
	v_fma_f16 v37, v7, s31, -v37
	v_mul_f16_e32 v6, 0x2de8, v6
	v_add_f16_e32 v5, v2, v5
	v_mul_u32_u24_e32 v7, 0x1dc, v3
	v_lshlrev_b32_e32 v2, 2, v4
	v_add_f16_e32 v53, v57, v53
	v_add_f16_e32 v52, v55, v52
	v_add_f16_e32 v46, v50, v46
	v_add_f16_e32 v35, v38, v35
	v_fma_f16 v38, v8, s13, v6
	v_fma_f16 v6, v8, s43, v6
	v_pack_b32_f16 v8, v12, v15
	v_add3_u32 v7, 0, v7, v2
	v_add_f16_e32 v49, v53, v49
	v_add_f16_e32 v47, v51, v47
	;; [unrolled: 1-line block ×5, first 2 shown]
	ds_write2_b32 v7, v11, v8 offset1:7
	v_pack_b32_f16 v8, v16, v19
	v_pack_b32_f16 v10, v20, v23
	v_add_f16_e32 v45, v49, v45
	v_add_f16_e32 v43, v47, v43
	;; [unrolled: 1-line block ×4, first 2 shown]
	ds_write2_b32 v7, v8, v10 offset0:14 offset1:21
	v_pack_b32_f16 v8, v24, v26
	v_pack_b32_f16 v10, v28, v31
	v_add_f16_e32 v41, v45, v41
	v_add_f16_e32 v38, v43, v38
	;; [unrolled: 1-line block ×3, first 2 shown]
	ds_write2_b32 v7, v8, v10 offset0:28 offset1:35
	v_pack_b32_f16 v8, v32, v34
	v_pack_b32_f16 v10, v36, v39
	v_add_f16_e32 v37, v41, v37
	s_load_dwordx2 s[0:1], s[18:19], 0x0
	ds_write2_b32 v7, v8, v10 offset0:42 offset1:49
	v_pack_b32_f16 v8, v38, v40
	v_pack_b32_f16 v5, v6, v5
	ds_write2_b32 v7, v8, v5 offset0:56 offset1:63
	v_pack_b32_f16 v5, v35, v37
	v_pack_b32_f16 v6, v30, v33
	;; [unrolled: 3-line block ×4, first 2 shown]
	ds_write2_b32 v7, v5, v6 offset0:98 offset1:105
	v_pack_b32_f16 v5, v9, v13
	ds_write_b32 v7, v5 offset:448
	s_waitcnt lgkmcnt(0)
	s_barrier
	s_and_saveexec_b64 s[18:19], s[6:7]
	s_cbranch_execz .LBB0_16
; %bb.15:
	v_mul_lo_u16_e32 v5, 31, v3
	v_lshrrev_b16_e32 v5, 9, v5
	v_mul_lo_u16_e32 v5, 17, v5
	v_sub_u16_e32 v5, v3, v5
	v_and_b32_e32 v5, 0xff, v5
	v_lshlrev_b32_e32 v6, 6, v5
	global_load_dwordx4 v[26:29], v6, s[26:27] offset:16
	global_load_dwordx4 v[21:24], v6, s[26:27] offset:32
	global_load_dwordx4 v[51:54], v6, s[26:27]
	global_load_dwordx4 v[43:46], v6, s[26:27] offset:48
	v_mul_u32_u24_e32 v3, 28, v3
	v_add3_u32 v36, 0, v3, v2
	v_add_u32_e32 v2, 0xe00, v36
	v_add_u32_e32 v6, 0xa00, v36
	v_add_u32_e32 v7, 0x1200, v36
	v_add_u32_e32 v8, 0x600, v36
	v_add_u32_e32 v9, 0x1600, v36
	ds_read2_b32 v[2:3], v2 offset0:56 offset1:175
	ds_read2_b32 v[10:11], v6 offset0:74 offset1:193
	;; [unrolled: 1-line block ×5, first 2 shown]
	v_add_u32_e32 v6, 0x110, v5
	v_mul_lo_u32 v37, v1, v6
	s_waitcnt lgkmcnt(4)
	v_lshrrev_b32_e32 v6, 16, v2
	v_mov_b32_e32 v25, 2
	v_lshrrev_b32_e32 v7, 16, v3
	s_waitcnt lgkmcnt(0)
	v_lshrrev_b32_e32 v38, 16, v35
	v_lshrrev_b32_e32 v8, 16, v11
	;; [unrolled: 1-line block ×8, first 2 shown]
	v_add_u32_e32 v149, 0x99, v5
	v_mul_lo_u32 v149, v1, v149
	v_add_u32_e32 v200, 0x88, v5
	v_mul_lo_u32 v200, v1, v200
	v_add_u32_e32 v205, 0x55, v5
	v_mul_lo_u32 v205, v1, v205
	s_mul_i32 s1, s1, s24
	v_lshlrev_b32_sdwa v202, v25, v200 dst_sel:DWORD dst_unused:UNUSED_PAD src0_sel:DWORD src1_sel:BYTE_0
	v_lshlrev_b32_sdwa v200, v25, v200 dst_sel:DWORD dst_unused:UNUSED_PAD src0_sel:DWORD src1_sel:BYTE_1
	s_waitcnt vmcnt(3)
	v_mul_f16_sdwa v14, v2, v29 dst_sel:DWORD dst_unused:UNUSED_PAD src0_sel:DWORD src1_sel:WORD_1
	v_mul_f16_sdwa v16, v6, v29 dst_sel:DWORD dst_unused:UNUSED_PAD src0_sel:DWORD src1_sel:WORD_1
	s_waitcnt vmcnt(2)
	v_mul_f16_sdwa v15, v3, v21 dst_sel:DWORD dst_unused:UNUSED_PAD src0_sel:DWORD src1_sel:WORD_1
	v_mul_f16_sdwa v18, v7, v21 dst_sel:DWORD dst_unused:UNUSED_PAD src0_sel:DWORD src1_sel:WORD_1
	v_fma_f16 v14, v6, v29, v14
	v_fma_f16 v6, v2, v29, -v16
	v_lshlrev_b32_sdwa v2, v25, v37 dst_sel:DWORD dst_unused:UNUSED_PAD src0_sel:DWORD src1_sel:BYTE_0
	v_fma_f16 v15, v7, v21, v15
	v_fma_f16 v7, v3, v21, -v18
	v_lshlrev_b32_sdwa v3, v25, v37 dst_sel:DWORD dst_unused:UNUSED_PAD src0_sel:DWORD src1_sel:BYTE_1
	global_load_dword v65, v2, s[16:17]
	global_load_dword v66, v3, s[16:17] offset:1024
	s_waitcnt vmcnt(2)
	v_mul_f16_sdwa v2, v38, v43 dst_sel:DWORD dst_unused:UNUSED_PAD src0_sel:DWORD src1_sel:WORD_1
	v_mul_f16_sdwa v60, v35, v43 dst_sel:DWORD dst_unused:UNUSED_PAD src0_sel:DWORD src1_sel:WORD_1
	v_fma_f16 v35, v35, v43, -v2
	v_add_u32_e32 v2, 0x200, v36
	v_mul_f16_sdwa v39, v11, v28 dst_sel:DWORD dst_unused:UNUSED_PAD src0_sel:DWORD src1_sel:WORD_1
	v_mul_f16_sdwa v40, v12, v22 dst_sel:DWORD dst_unused:UNUSED_PAD src0_sel:DWORD src1_sel:WORD_1
	;; [unrolled: 1-line block ×13, first 2 shown]
	ds_read2_b32 v[2:3], v2 offset0:110 offset1:229
	v_mul_f16_sdwa v57, v20, v26 dst_sel:DWORD dst_unused:UNUSED_PAD src0_sel:DWORD src1_sel:WORD_1
	v_fma_f16 v18, v8, v28, v39
	v_fma_f16 v16, v9, v22, v40
	v_fma_f16 v9, v11, v28, -v41
	v_fma_f16 v8, v12, v22, -v42
	v_fma_f16 v21, v17, v27, v47
	v_fma_f16 v19, v19, v23, v48
	v_fma_f16 v12, v10, v27, -v49
	v_fma_f16 v10, v13, v23, -v50
	v_fma_f16 v23, v20, v26, v55
	v_fma_f16 v20, v32, v24, v56
	v_fma_f16 v11, v34, v24, -v58
	v_fma_f16 v24, v33, v54, v59
	v_fma_f16 v22, v38, v43, v60
	v_fma_f16 v17, v30, v54, -v61
	v_add_u32_e32 v37, 0x1800, v36
	ds_read_u16 v38, v36 offset:1430
	ds_read2_b32 v[54:55], v37 offset0:130 offset1:249
	s_waitcnt lgkmcnt(2)
	v_mul_f16_sdwa v37, v53, v3 dst_sel:DWORD dst_unused:UNUSED_PAD src0_sel:WORD_1 src1_sel:DWORD
	v_mul_f16_sdwa v40, v52, v2 dst_sel:DWORD dst_unused:UNUSED_PAD src0_sel:WORD_1 src1_sel:DWORD
	v_fma_f16 v13, v31, v26, -v57
	s_waitcnt lgkmcnt(1)
	v_fma_f16 v41, v38, v53, v37
	s_waitcnt lgkmcnt(0)
	v_lshrrev_b32_e32 v37, 16, v54
	v_mul_f16_sdwa v38, v38, v53 dst_sel:DWORD dst_unused:UNUSED_PAD src0_sel:DWORD src1_sel:WORD_1
	v_mul_f16_sdwa v39, v54, v44 dst_sel:DWORD dst_unused:UNUSED_PAD src0_sel:DWORD src1_sel:WORD_1
	v_fma_f16 v38, v53, v3, -v38
	v_mul_f16_sdwa v3, v37, v44 dst_sel:DWORD dst_unused:UNUSED_PAD src0_sel:DWORD src1_sel:WORD_1
	v_fma_f16 v39, v37, v44, v39
	v_fma_f16 v37, v54, v44, -v3
	v_add_u32_e32 v54, 0xff, v5
	v_mul_lo_u32 v54, v1, v54
	v_lshrrev_b32_e32 v3, 16, v2
	v_fma_f16 v44, v52, v3, v40
	v_lshrrev_b32_e32 v40, 16, v55
	v_mul_f16_sdwa v42, v55, v45 dst_sel:DWORD dst_unused:UNUSED_PAD src0_sel:DWORD src1_sel:WORD_1
	v_mul_f16_sdwa v3, v52, v3 dst_sel:DWORD dst_unused:UNUSED_PAD src0_sel:WORD_1 src1_sel:DWORD
	ds_read_b32 v57, v36 offset:7616
	v_fma_f16 v43, v40, v45, v42
	v_fma_f16 v42, v52, v2, -v3
	ds_read2_b32 v[2:3], v36 offset1:119
	v_mul_f16_sdwa v36, v40, v45 dst_sel:DWORD dst_unused:UNUSED_PAD src0_sel:DWORD src1_sel:WORD_1
	v_fma_f16 v40, v55, v45, -v36
	v_lshlrev_b32_sdwa v55, v25, v54 dst_sel:DWORD dst_unused:UNUSED_PAD src0_sel:DWORD src1_sel:BYTE_0
	v_lshlrev_b32_sdwa v54, v25, v54 dst_sel:DWORD dst_unused:UNUSED_PAD src0_sel:DWORD src1_sel:BYTE_1
	global_load_dword v78, v55, s[16:17]
	global_load_dword v79, v54, s[16:17] offset:1024
	s_waitcnt lgkmcnt(0)
	v_lshrrev_b32_e32 v45, 16, v3
	v_mul_f16_sdwa v53, v51, v3 dst_sel:DWORD dst_unused:UNUSED_PAD src0_sel:WORD_1 src1_sel:DWORD
	v_fma_f16 v53, v51, v45, v53
	v_mul_f16_sdwa v45, v51, v45 dst_sel:DWORD dst_unused:UNUSED_PAD src0_sel:WORD_1 src1_sel:DWORD
	v_lshrrev_b32_e32 v64, 16, v57
	v_fma_f16 v54, v51, v3, -v45
	v_mul_f16_sdwa v3, v57, v46 dst_sel:DWORD dst_unused:UNUSED_PAD src0_sel:DWORD src1_sel:WORD_1
	v_fma_f16 v55, v64, v46, v3
	v_mul_f16_sdwa v3, v64, v46 dst_sel:DWORD dst_unused:UNUSED_PAD src0_sel:DWORD src1_sel:WORD_1
	v_add_f16_e32 v139, v53, v55
	v_fma_f16 v51, v57, v46, -v3
	v_add_f16_e32 v138, v44, v43
	v_mul_f16_e32 v56, 0x3b76, v139
	v_sub_f16_e32 v57, v54, v51
	v_add_f16_e32 v137, v41, v39
	v_mul_f16_e32 v50, 0x39e9, v138
	v_sub_f16_e32 v52, v42, v40
	v_fma_f16 v3, v57, s36, v56
	v_add_f16_e32 v120, v24, v22
	v_mul_f16_e32 v48, 0x3722, v137
	v_sub_f16_e32 v49, v38, v37
	v_fma_f16 v36, v52, s39, v50
	v_add_f16_sdwa v3, v3, v2 dst_sel:DWORD dst_unused:UNUSED_PAD src0_sel:DWORD src1_sel:WORD_1
	v_add_f16_e32 v119, v23, v20
	v_mul_f16_e32 v34, 0x2de8, v120
	v_sub_f16_e32 v47, v17, v35
	v_fma_f16 v63, v49, s37, v48
	v_add_f16_e32 v3, v36, v3
	v_add_f16_e32 v118, v21, v19
	v_sub_f16_e32 v29, v13, v11
	v_mul_f16_e32 v33, 0xb461, v119
	v_fma_f16 v62, v47, s43, v34
	v_add_f16_e32 v3, v63, v3
	v_add_u32_e32 v36, 0xee, v5
	v_add_f16_e32 v116, v18, v16
	v_sub_f16_e32 v28, v12, v10
	v_mul_f16_e32 v32, 0xb8d2, v118
	v_fma_f16 v61, v29, s38, v33
	v_add_f16_e32 v3, v62, v3
	v_mul_lo_u32 v36, v1, v36
	v_add_u32_e32 v45, 0xdd, v5
	v_add_f16_e32 v114, v14, v15
	v_sub_f16_e32 v27, v9, v8
	v_mul_f16_e32 v31, 0xbacd, v116
	v_fma_f16 v60, v28, s42, v32
	v_add_f16_e32 v3, v61, v3
	v_mul_lo_u32 v45, v1, v45
	v_sub_f16_e32 v26, v6, v7
	v_mul_f16_e32 v30, 0xbbdd, v114
	v_fma_f16 v59, v27, s40, v31
	v_add_f16_e32 v3, v60, v3
	v_fma_f16 v58, v26, s41, v30
	v_add_f16_e32 v3, v59, v3
	v_add_f16_e32 v46, v58, v3
	v_lshlrev_b32_sdwa v3, v25, v36 dst_sel:DWORD dst_unused:UNUSED_PAD src0_sel:DWORD src1_sel:BYTE_0
	v_lshlrev_b32_sdwa v36, v25, v36 dst_sel:DWORD dst_unused:UNUSED_PAD src0_sel:DWORD src1_sel:BYTE_1
	v_lshlrev_b32_sdwa v58, v25, v45 dst_sel:DWORD dst_unused:UNUSED_PAD src0_sel:DWORD src1_sel:BYTE_0
	v_lshlrev_b32_sdwa v45, v25, v45 dst_sel:DWORD dst_unused:UNUSED_PAD src0_sel:DWORD src1_sel:BYTE_1
	global_load_dword v59, v3, s[16:17]
	global_load_dword v60, v36, s[16:17] offset:1024
	global_load_dword v61, v58, s[16:17]
	global_load_dword v86, v45, s[16:17] offset:1024
	s_waitcnt vmcnt(7)
	v_lshrrev_b32_e32 v3, 16, v65
	s_waitcnt vmcnt(6)
	v_mul_f16_sdwa v36, v3, v66 dst_sel:DWORD dst_unused:UNUSED_PAD src0_sel:DWORD src1_sel:WORD_1
	v_sub_f16_e32 v142, v53, v55
	v_fma_f16 v36, v65, v66, -v36
	v_sub_f16_e32 v140, v44, v43
	v_add_f16_e32 v64, v54, v51
	v_mul_f16_sdwa v45, v65, v66 dst_sel:DWORD dst_unused:UNUSED_PAD src0_sel:DWORD src1_sel:WORD_1
	v_mul_f16_e32 v65, 0xb5c8, v142
	v_add_f16_e32 v62, v42, v40
	v_mul_f16_e32 v63, 0xb964, v140
	v_fma_f16 v45, v3, v66, v45
	v_fma_f16 v3, v64, s23, v65
	v_sub_f16_e32 v141, v41, v39
	v_add_f16_e32 v3, v3, v2
	v_fma_f16 v58, v62, s28, v63
	v_add_f16_e32 v66, v38, v37
	v_mul_f16_e32 v67, 0xbb29, v141
	v_sub_f16_e32 v143, v24, v22
	v_add_f16_e32 v3, v58, v3
	v_fma_f16 v58, v66, s29, v67
	v_add_f16_e32 v68, v17, v35
	v_mul_f16_e32 v69, 0xbbf7, v143
	;; [unrolled: 5-line block ×6, first 2 shown]
	v_add_f16_e32 v3, v58, v3
	v_fma_f16 v58, v76, s35, v77
	v_add_f16_e32 v58, v58, v3
	v_mul_f16_e32 v3, v58, v45
	v_mul_f16_e32 v45, v46, v45
	v_fma_f16 v3, v46, v36, v3
	v_fma_f16 v36, v58, v36, -v45
	s_waitcnt vmcnt(5)
	v_lshrrev_b32_e32 v45, 16, v78
	s_waitcnt vmcnt(4)
	v_mul_f16_sdwa v58, v78, v79 dst_sel:DWORD dst_unused:UNUSED_PAD src0_sel:DWORD src1_sel:WORD_1
	v_mul_f16_e32 v90, 0x39e9, v139
	v_mul_f16_sdwa v46, v45, v79 dst_sel:DWORD dst_unused:UNUSED_PAD src0_sel:DWORD src1_sel:WORD_1
	v_fma_f16 v58, v45, v79, v58
	v_fma_f16 v45, v57, s39, v90
	v_mul_f16_e32 v95, 0x2de8, v138
	v_fma_f16 v46, v78, v79, -v46
	v_add_f16_sdwa v45, v45, v2 dst_sel:DWORD dst_unused:UNUSED_PAD src0_sel:DWORD src1_sel:WORD_1
	v_fma_f16 v78, v52, s43, v95
	v_mul_f16_e32 v94, 0xb8d2, v137
	v_add_f16_e32 v45, v78, v45
	v_fma_f16 v78, v49, s42, v94
	v_mul_f16_e32 v93, 0xbbdd, v120
	v_add_f16_e32 v45, v78, v45
	;; [unrolled: 3-line block ×8, first 2 shown]
	v_fma_f16 v78, v62, s30, v85
	v_add_f16_e32 v45, v78, v45
	v_mul_f16_e32 v78, 0xba62, v141
	v_fma_f16 v79, v66, s33, v78
	v_add_f16_e32 v45, v79, v45
	v_mul_f16_e32 v79, 0xb1e1, v143
	;; [unrolled: 3-line block ×7, first 2 shown]
	v_mul_f16_e32 v58, v87, v58
	v_fma_f16 v45, v87, v46, v45
	v_fma_f16 v46, v96, v46, -v58
	s_waitcnt vmcnt(3)
	v_lshrrev_b32_e32 v58, 16, v59
	s_waitcnt vmcnt(2)
	v_mul_f16_sdwa v87, v58, v60 dst_sel:DWORD dst_unused:UNUSED_PAD src0_sel:DWORD src1_sel:WORD_1
	v_fma_f16 v87, v59, v60, -v87
	v_mul_f16_sdwa v59, v59, v60 dst_sel:DWORD dst_unused:UNUSED_PAD src0_sel:DWORD src1_sel:WORD_1
	v_mul_f16_e32 v98, 0x3722, v139
	v_fma_f16 v59, v58, v60, v59
	v_fma_f16 v58, v57, s37, v98
	v_mul_f16_e32 v101, 0xb8d2, v138
	v_add_f16_sdwa v58, v58, v2 dst_sel:DWORD dst_unused:UNUSED_PAD src0_sel:DWORD src1_sel:WORD_1
	v_fma_f16 v60, v52, s42, v101
	v_mul_f16_e32 v99, 0xbbdd, v137
	v_add_f16_e32 v58, v60, v58
	v_fma_f16 v60, v49, s25, v99
	v_mul_f16_e32 v100, 0xb461, v120
	v_add_f16_e32 v58, v60, v58
	;; [unrolled: 3-line block ×13, first 2 shown]
	v_fma_f16 v96, v74, s30, v112
	v_add_f16_e32 v58, v96, v58
	v_add_u32_e32 v96, 0xcc, v5
	v_mul_lo_u32 v96, v1, v96
	v_mul_f16_e32 v113, 0xb836, v147
	v_fma_f16 v97, v76, s34, v113
	v_add_f16_e32 v97, v97, v58
	v_lshlrev_b32_sdwa v115, v25, v96 dst_sel:DWORD dst_unused:UNUSED_PAD src0_sel:DWORD src1_sel:BYTE_0
	v_lshlrev_b32_sdwa v96, v25, v96 dst_sel:DWORD dst_unused:UNUSED_PAD src0_sel:DWORD src1_sel:BYTE_1
	global_load_dword v115, v115, s[16:17]
	s_nop 0
	global_load_dword v96, v96, s[16:17] offset:1024
	v_mul_f16_e32 v58, v97, v59
	v_fma_f16 v58, v60, v87, v58
	v_mul_f16_e32 v59, v60, v59
	s_waitcnt vmcnt(3)
	v_lshrrev_b32_e32 v60, 16, v61
	v_fma_f16 v59, v97, v87, -v59
	s_waitcnt vmcnt(2)
	v_mul_f16_sdwa v87, v60, v86 dst_sel:DWORD dst_unused:UNUSED_PAD src0_sel:DWORD src1_sel:WORD_1
	v_fma_f16 v87, v61, v86, -v87
	v_mul_f16_sdwa v61, v61, v86 dst_sel:DWORD dst_unused:UNUSED_PAD src0_sel:DWORD src1_sel:WORD_1
	v_mul_f16_e32 v121, 0x2de8, v139
	v_fma_f16 v61, v60, v86, v61
	v_fma_f16 v60, v57, s43, v121
	v_mul_f16_e32 v124, 0xbbdd, v138
	v_add_f16_sdwa v60, v60, v2 dst_sel:DWORD dst_unused:UNUSED_PAD src0_sel:DWORD src1_sel:WORD_1
	v_fma_f16 v86, v52, s41, v124
	v_mul_f16_e32 v122, 0xb461, v137
	v_add_f16_e32 v60, v86, v60
	v_fma_f16 v86, v49, s20, v122
	v_mul_f16_e32 v123, 0x3b76, v120
	v_add_f16_e32 v60, v86, v60
	;; [unrolled: 3-line block ×11, first 2 shown]
	v_fma_f16 v97, v70, s29, v133
	v_add_f16_e32 v60, v97, v60
	v_add_u32_e32 v97, 0xbb, v5
	v_mul_lo_u32 v97, v1, v97
	v_mul_f16_e32 v134, 0xb836, v145
	v_fma_f16 v117, v72, s34, v134
	v_add_f16_e32 v60, v117, v60
	v_lshlrev_b32_sdwa v117, v25, v97 dst_sel:DWORD dst_unused:UNUSED_PAD src0_sel:DWORD src1_sel:BYTE_0
	v_lshlrev_b32_sdwa v97, v25, v97 dst_sel:DWORD dst_unused:UNUSED_PAD src0_sel:DWORD src1_sel:BYTE_1
	global_load_dword v117, v117, s[16:17]
	s_nop 0
	global_load_dword v97, v97, s[16:17] offset:1024
	v_mul_f16_e32 v135, 0x3a62, v146
	v_fma_f16 v136, v74, s33, v135
	v_add_f16_e32 v60, v136, v60
	v_mul_f16_e32 v136, 0x3964, v147
	v_fma_f16 v148, v76, s28, v136
	v_add_f16_e32 v148, v148, v60
	v_mul_f16_e32 v60, v148, v61
	v_fma_f16 v60, v86, v87, v60
	v_mul_f16_e32 v61, v86, v61
	v_add_u32_e32 v86, 0xaa, v5
	v_mul_lo_u32 v86, v1, v86
	v_fma_f16 v61, v148, v87, -v61
	v_lshlrev_b32_sdwa v148, v25, v149 dst_sel:DWORD dst_unused:UNUSED_PAD src0_sel:DWORD src1_sel:BYTE_0
	v_lshlrev_b32_sdwa v149, v25, v149 dst_sel:DWORD dst_unused:UNUSED_PAD src0_sel:DWORD src1_sel:BYTE_1
	v_lshlrev_b32_sdwa v87, v25, v86 dst_sel:DWORD dst_unused:UNUSED_PAD src0_sel:DWORD src1_sel:BYTE_0
	v_lshlrev_b32_sdwa v86, v25, v86 dst_sel:DWORD dst_unused:UNUSED_PAD src0_sel:DWORD src1_sel:BYTE_1
	global_load_dword v180, v87, s[16:17]
	global_load_dword v181, v86, s[16:17] offset:1024
	global_load_dword v182, v148, s[16:17]
	global_load_dword v183, v149, s[16:17] offset:1024
	v_mul_f16_e32 v148, 0xb461, v139
	v_mul_f16_e32 v156, 0xbacd, v138
	;; [unrolled: 1-line block ×5, first 2 shown]
	s_waitcnt vmcnt(7)
	v_lshrrev_b32_e32 v86, 16, v115
	s_waitcnt vmcnt(6)
	v_mul_f16_sdwa v87, v86, v96 dst_sel:DWORD dst_unused:UNUSED_PAD src0_sel:DWORD src1_sel:WORD_1
	v_fma_f16 v87, v115, v96, -v87
	v_mul_f16_sdwa v115, v115, v96 dst_sel:DWORD dst_unused:UNUSED_PAD src0_sel:DWORD src1_sel:WORD_1
	v_fma_f16 v96, v86, v96, v115
	v_fma_f16 v86, v57, s38, v148
	v_add_f16_sdwa v86, v86, v2 dst_sel:DWORD dst_unused:UNUSED_PAD src0_sel:DWORD src1_sel:WORD_1
	v_fma_f16 v115, v52, s22, v156
	v_add_f16_e32 v86, v115, v86
	v_fma_f16 v115, v49, s3, v153
	v_add_f16_e32 v86, v115, v86
	;; [unrolled: 2-line block ×3, first 2 shown]
	v_fma_f16 v115, v29, s41, v152
	v_mul_f16_e32 v154, 0x2de8, v118
	v_add_f16_e32 v86, v115, v86
	v_fma_f16 v115, v28, s13, v154
	v_mul_f16_e32 v149, 0x3b76, v116
	v_add_f16_e32 v86, v115, v86
	;; [unrolled: 3-line block ×5, first 2 shown]
	v_fma_f16 v157, v62, s34, v159
	v_add_f16_e32 v86, v157, v86
	v_mul_f16_e32 v157, 0x3964, v141
	v_fma_f16 v158, v66, s28, v157
	v_add_f16_e32 v86, v158, v86
	v_mul_f16_e32 v158, 0xbb29, v143
	;; [unrolled: 3-line block ×7, first 2 shown]
	v_mul_f16_e32 v96, v115, v96
	v_fma_f16 v86, v115, v87, v86
	v_fma_f16 v87, v164, v87, -v96
	v_mul_f16_e32 v173, 0xb8d2, v139
	v_mul_f16_e32 v176, 0xb461, v138
	;; [unrolled: 1-line block ×4, first 2 shown]
	s_waitcnt vmcnt(5)
	v_lshrrev_b32_e32 v96, 16, v117
	s_waitcnt vmcnt(4)
	v_mul_f16_sdwa v115, v96, v97 dst_sel:DWORD dst_unused:UNUSED_PAD src0_sel:DWORD src1_sel:WORD_1
	v_fma_f16 v115, v117, v97, -v115
	v_mul_f16_sdwa v117, v117, v97 dst_sel:DWORD dst_unused:UNUSED_PAD src0_sel:DWORD src1_sel:WORD_1
	v_fma_f16 v97, v96, v97, v117
	v_fma_f16 v96, v57, s42, v173
	v_add_f16_sdwa v96, v96, v2 dst_sel:DWORD dst_unused:UNUSED_PAD src0_sel:DWORD src1_sel:WORD_1
	v_fma_f16 v117, v52, s20, v176
	v_add_f16_e32 v96, v117, v96
	v_fma_f16 v117, v49, s36, v174
	v_add_f16_e32 v96, v117, v96
	v_fma_f16 v117, v47, s40, v175
	v_mul_f16_e32 v177, 0x2de8, v119
	v_add_f16_e32 v96, v117, v96
	v_fma_f16 v117, v29, s13, v177
	v_mul_f16_e32 v178, 0x39e9, v118
	;; [unrolled: 3-line block ×6, first 2 shown]
	v_add_f16_e32 v96, v96, v2
	v_fma_f16 v165, v62, s31, v172
	v_add_f16_e32 v96, v165, v96
	v_mul_f16_e32 v165, 0xb5c8, v141
	v_fma_f16 v166, v66, s23, v165
	v_add_f16_e32 v96, v166, v96
	v_mul_f16_e32 v166, 0xb836, v143
	;; [unrolled: 3-line block ×7, first 2 shown]
	v_mul_f16_e32 v97, v117, v97
	v_fma_f16 v96, v117, v115, v96
	v_fma_f16 v97, v184, v115, -v97
	s_waitcnt vmcnt(3)
	v_lshrrev_b32_e32 v115, 16, v180
	s_waitcnt vmcnt(2)
	v_mul_f16_sdwa v117, v115, v181 dst_sel:DWORD dst_unused:UNUSED_PAD src0_sel:DWORD src1_sel:WORD_1
	v_fma_f16 v117, v180, v181, -v117
	v_mul_f16_sdwa v180, v180, v181 dst_sel:DWORD dst_unused:UNUSED_PAD src0_sel:DWORD src1_sel:WORD_1
	v_fma_f16 v180, v115, v181, v180
	v_mul_f16_e32 v181, 0xbacd, v139
	v_fma_f16 v115, v57, s40, v181
	v_mul_f16_e32 v184, 0x3722, v138
	v_add_f16_sdwa v115, v115, v2 dst_sel:DWORD dst_unused:UNUSED_PAD src0_sel:DWORD src1_sel:WORD_1
	v_fma_f16 v185, v52, s12, v184
	v_add_f16_e32 v115, v185, v115
	v_mul_f16_e32 v185, 0x2de8, v137
	v_fma_f16 v186, v49, s43, v185
	v_add_f16_e32 v115, v186, v115
	v_mul_f16_e32 v186, 0xb8d2, v120
	;; [unrolled: 3-line block ×6, first 2 shown]
	v_fma_f16 v191, v26, s38, v190
	v_mul_f16_e32 v192, 0xb836, v142
	v_add_f16_e32 v191, v191, v115
	v_fma_f16 v115, v64, s34, v192
	v_mul_f16_e32 v193, 0x3b29, v140
	v_add_f16_e32 v115, v115, v2
	v_fma_f16 v194, v62, s29, v193
	v_add_f16_e32 v115, v194, v115
	v_mul_f16_e32 v194, 0xbbf7, v141
	v_fma_f16 v195, v66, s30, v194
	v_add_f16_e32 v115, v195, v115
	v_mul_f16_e32 v195, 0x3a62, v143
	;; [unrolled: 3-line block ×7, first 2 shown]
	v_mul_f16_e32 v180, v191, v180
	v_fma_f16 v115, v191, v117, v115
	v_fma_f16 v117, v201, v117, -v180
	s_waitcnt vmcnt(1)
	v_lshrrev_b32_e32 v180, 16, v182
	s_waitcnt vmcnt(0)
	v_mul_f16_sdwa v191, v180, v183 dst_sel:DWORD dst_unused:UNUSED_PAD src0_sel:DWORD src1_sel:WORD_1
	v_fma_f16 v191, v182, v183, -v191
	v_mul_f16_sdwa v182, v182, v183 dst_sel:DWORD dst_unused:UNUSED_PAD src0_sel:DWORD src1_sel:WORD_1
	v_mul_f16_e32 v139, 0xbbdd, v139
	v_fma_f16 v180, v180, v183, v182
	v_mul_f16_e32 v138, 0x3b76, v138
	v_fma_f16 v182, v57, s41, v139
	v_add_f16_sdwa v182, v182, v2 dst_sel:DWORD dst_unused:UNUSED_PAD src0_sel:DWORD src1_sel:WORD_1
	v_fma_f16 v183, v52, s2, v138
	v_mul_f16_e32 v137, 0xbacd, v137
	v_add_f16_e32 v182, v183, v182
	v_fma_f16 v183, v49, s40, v137
	v_mul_f16_e32 v120, 0x39e9, v120
	v_add_f16_e32 v182, v183, v182
	;; [unrolled: 3-line block ×4, first 2 shown]
	v_fma_f16 v183, v28, s12, v118
	v_add_f16_e32 v182, v183, v182
	v_mul_f16_e32 v183, 0xb461, v116
	v_fma_f16 v116, v27, s38, v183
	v_add_f16_e32 v116, v116, v182
	v_mul_f16_e32 v182, 0x2de8, v114
	v_fma_f16 v114, v26, s13, v182
	v_add_f16_e32 v116, v114, v116
	v_add_u32_e32 v114, 0x77, v5
	global_load_dword v202, v202, s[16:17]
	s_nop 0
	global_load_dword v200, v200, s[16:17] offset:1024
	v_mul_lo_u32 v114, v1, v114
	v_mul_f16_e32 v142, 0xb1e1, v142
	v_mul_f16_e32 v140, 0x35c8, v140
	v_fma_f16 v201, v64, s35, v142
	v_lshlrev_b32_sdwa v203, v25, v114 dst_sel:DWORD dst_unused:UNUSED_PAD src0_sel:DWORD src1_sel:BYTE_0
	v_lshlrev_b32_sdwa v114, v25, v114 dst_sel:DWORD dst_unused:UNUSED_PAD src0_sel:DWORD src1_sel:BYTE_1
	global_load_dword v203, v203, s[16:17]
	s_nop 0
	global_load_dword v204, v114, s[16:17] offset:1024
	v_add_f16_e32 v114, v201, v2
	v_fma_f16 v201, v62, s23, v140
	v_mul_f16_e32 v141, 0xb836, v141
	v_add_f16_e32 v114, v201, v114
	v_fma_f16 v201, v66, s34, v141
	v_mul_f16_e32 v143, 0x3964, v143
	;; [unrolled: 3-line block ×6, first 2 shown]
	v_add_f16_e32 v114, v201, v114
	v_fma_f16 v201, v76, s30, v147
	v_add_f16_e32 v201, v201, v114
	v_mul_f16_e32 v114, v201, v180
	v_fma_f16 v114, v116, v191, v114
	v_mul_f16_e32 v116, v116, v180
	v_add_u32_e32 v180, 0x66, v5
	v_mul_lo_u32 v180, v1, v180
	v_fma_f16 v116, v201, v191, -v116
	v_lshlrev_b32_sdwa v201, v25, v205 dst_sel:DWORD dst_unused:UNUSED_PAD src0_sel:DWORD src1_sel:BYTE_0
	v_lshlrev_b32_sdwa v205, v25, v205 dst_sel:DWORD dst_unused:UNUSED_PAD src0_sel:DWORD src1_sel:BYTE_1
	v_lshlrev_b32_sdwa v191, v25, v180 dst_sel:DWORD dst_unused:UNUSED_PAD src0_sel:DWORD src1_sel:BYTE_0
	v_lshlrev_b32_sdwa v180, v25, v180 dst_sel:DWORD dst_unused:UNUSED_PAD src0_sel:DWORD src1_sel:BYTE_1
	global_load_dword v191, v191, s[16:17]
	s_nop 0
	global_load_dword v180, v180, s[16:17] offset:1024
	s_nop 0
	global_load_dword v201, v201, s[16:17]
	s_nop 0
	global_load_dword v205, v205, s[16:17] offset:1024
	v_fma_f16 v139, v57, s25, v139
	v_fma_f16 v138, v52, s36, v138
	v_add_f16_sdwa v139, v139, v2 dst_sel:DWORD dst_unused:UNUSED_PAD src0_sel:DWORD src1_sel:WORD_1
	v_add_f16_e32 v138, v138, v139
	v_fma_f16 v137, v49, s22, v137
	v_add_f16_e32 v137, v137, v138
	v_fma_f16 v120, v47, s39, v120
	;; [unrolled: 2-line block ×6, first 2 shown]
	v_fma_f16 v120, v64, s35, -v142
	v_add_f16_e32 v119, v119, v118
	v_fma_f16 v118, v62, s23, -v140
	v_add_f16_e32 v120, v120, v2
	v_add_f16_e32 v118, v118, v120
	v_fma_f16 v120, v66, s34, -v141
	v_add_f16_e32 v118, v120, v118
	v_fma_f16 v120, v68, s28, -v143
	;; [unrolled: 2-line block ×6, first 2 shown]
	v_add_f16_e32 v120, v120, v118
	v_fma_f16 v139, v57, s22, v181
	v_add_f16_sdwa v139, v139, v2 dst_sel:DWORD dst_unused:UNUSED_PAD src0_sel:DWORD src1_sel:WORD_1
	v_fma_f16 v140, v64, s34, -v192
	v_add_f16_e32 v140, v140, v2
	v_fma_f16 v141, v57, s21, v173
	v_add_f16_sdwa v141, v141, v2 dst_sel:DWORD dst_unused:UNUSED_PAD src0_sel:DWORD src1_sel:WORD_1
	v_fma_f16 v142, v26, s37, v168
	s_waitcnt vmcnt(7)
	v_lshrrev_b32_e32 v206, 16, v202
	s_waitcnt vmcnt(6)
	v_mul_f16_sdwa v207, v206, v200 dst_sel:DWORD dst_unused:UNUSED_PAD src0_sel:DWORD src1_sel:WORD_1
	v_fma_f16 v207, v202, v200, -v207
	v_mul_f16_sdwa v202, v202, v200 dst_sel:DWORD dst_unused:UNUSED_PAD src0_sel:DWORD src1_sel:WORD_1
	v_fma_f16 v200, v206, v200, v202
	v_mul_f16_e32 v118, v120, v200
	v_fma_f16 v118, v119, v207, v118
	v_mul_f16_e32 v119, v119, v200
	v_fma_f16 v119, v120, v207, -v119
	s_waitcnt vmcnt(5)
	v_lshrrev_b32_e32 v120, 16, v203
	s_waitcnt vmcnt(4)
	v_mul_f16_sdwa v138, v203, v204 dst_sel:DWORD dst_unused:UNUSED_PAD src0_sel:DWORD src1_sel:WORD_1
	v_mul_f16_sdwa v137, v120, v204 dst_sel:DWORD dst_unused:UNUSED_PAD src0_sel:DWORD src1_sel:WORD_1
	v_fma_f16 v138, v120, v204, v138
	v_fma_f16 v120, v52, s37, v184
	v_add_f16_e32 v120, v120, v139
	v_fma_f16 v139, v49, s13, v185
	v_add_f16_e32 v120, v139, v120
	;; [unrolled: 2-line block ×7, first 2 shown]
	v_fma_f16 v120, v62, s29, -v193
	v_add_f16_e32 v120, v120, v140
	v_fma_f16 v140, v66, s30, -v194
	v_add_f16_e32 v120, v140, v120
	;; [unrolled: 2-line block ×7, first 2 shown]
	v_fma_f16 v137, v203, v204, -v137
	v_mul_f16_e32 v120, v140, v138
	v_mul_f16_e32 v138, v139, v138
	v_fma_f16 v120, v139, v137, v120
	v_fma_f16 v137, v140, v137, -v138
	s_waitcnt vmcnt(3)
	v_lshrrev_b32_e32 v138, 16, v191
	s_waitcnt vmcnt(2)
	v_mul_f16_sdwa v140, v191, v180 dst_sel:DWORD dst_unused:UNUSED_PAD src0_sel:DWORD src1_sel:WORD_1
	v_mul_f16_sdwa v139, v138, v180 dst_sel:DWORD dst_unused:UNUSED_PAD src0_sel:DWORD src1_sel:WORD_1
	v_fma_f16 v140, v138, v180, v140
	v_fma_f16 v138, v52, s38, v176
	v_add_f16_e32 v138, v138, v141
	v_fma_f16 v141, v49, s2, v174
	v_add_f16_e32 v138, v141, v138
	v_fma_f16 v141, v47, s22, v175
	v_add_f16_e32 v138, v141, v138
	v_fma_f16 v141, v29, s43, v177
	v_add_f16_e32 v138, v141, v138
	v_fma_f16 v141, v28, s3, v178
	v_add_f16_e32 v138, v141, v138
	v_fma_f16 v141, v27, s25, v179
	v_add_f16_e32 v138, v141, v138
	v_add_u32_e32 v141, 0x44, v5
	v_mul_lo_u32 v141, v1, v141
	v_add_f16_e32 v142, v142, v138
	v_fma_f16 v138, v62, s31, -v172
	v_fma_f16 v139, v191, v180, -v139
	v_lshlrev_b32_sdwa v143, v25, v141 dst_sel:DWORD dst_unused:UNUSED_PAD src0_sel:DWORD src1_sel:BYTE_0
	v_lshlrev_b32_sdwa v141, v25, v141 dst_sel:DWORD dst_unused:UNUSED_PAD src0_sel:DWORD src1_sel:BYTE_1
	global_load_dword v143, v143, s[16:17]
	s_nop 0
	global_load_dword v144, v141, s[16:17] offset:1024
	v_fma_f16 v141, v64, s33, -v164
	v_add_f16_e32 v141, v141, v2
	v_add_f16_e32 v138, v138, v141
	v_fma_f16 v141, v66, s23, -v165
	v_add_f16_e32 v138, v141, v138
	v_fma_f16 v141, v68, s34, -v166
	;; [unrolled: 2-line block ×6, first 2 shown]
	v_add_f16_e32 v141, v141, v138
	v_mul_f16_e32 v138, v141, v140
	v_mul_f16_e32 v140, v142, v140
	v_fma_f16 v138, v142, v139, v138
	v_fma_f16 v139, v141, v139, -v140
	s_waitcnt vmcnt(3)
	v_lshrrev_b32_e32 v140, 16, v201
	s_waitcnt vmcnt(2)
	v_mul_f16_sdwa v142, v201, v205 dst_sel:DWORD dst_unused:UNUSED_PAD src0_sel:DWORD src1_sel:WORD_1
	v_fma_f16 v145, v57, s20, v148
	v_mul_f16_sdwa v141, v140, v205 dst_sel:DWORD dst_unused:UNUSED_PAD src0_sel:DWORD src1_sel:WORD_1
	v_fma_f16 v142, v140, v205, v142
	v_fma_f16 v140, v52, s40, v156
	v_add_f16_sdwa v145, v145, v2 dst_sel:DWORD dst_unused:UNUSED_PAD src0_sel:DWORD src1_sel:WORD_1
	v_add_f16_e32 v140, v140, v145
	v_fma_f16 v145, v49, s39, v153
	v_add_f16_e32 v140, v145, v140
	v_fma_f16 v145, v47, s12, v155
	;; [unrolled: 2-line block ×6, first 2 shown]
	v_fma_f16 v148, v64, s31, -v151
	v_add_f16_e32 v146, v146, v140
	v_fma_f16 v140, v62, s34, -v159
	v_add_f16_e32 v148, v148, v2
	v_add_f16_e32 v140, v140, v148
	v_fma_f16 v148, v66, s28, -v157
	v_add_f16_e32 v140, v148, v140
	v_fma_f16 v148, v68, s29, -v158
	v_add_u32_e32 v145, 51, v5
	v_add_f16_e32 v140, v148, v140
	v_fma_f16 v148, v70, s35, -v160
	v_mul_lo_u32 v145, v1, v145
	v_add_f16_e32 v140, v148, v140
	v_fma_f16 v148, v72, s30, -v161
	v_add_f16_e32 v140, v148, v140
	v_fma_f16 v148, v74, s23, -v162
	v_add_f16_e32 v140, v148, v140
	v_fma_f16 v148, v76, s33, -v163
	v_add_f16_e32 v148, v148, v140
	v_fma_f16 v141, v201, v205, -v141
	v_lshlrev_b32_sdwa v147, v25, v145 dst_sel:DWORD dst_unused:UNUSED_PAD src0_sel:DWORD src1_sel:BYTE_0
	v_lshlrev_b32_sdwa v145, v25, v145 dst_sel:DWORD dst_unused:UNUSED_PAD src0_sel:DWORD src1_sel:BYTE_1
	v_mul_f16_e32 v140, v148, v142
	global_load_dword v147, v147, s[16:17]
	s_nop 0
	global_load_dword v145, v145, s[16:17] offset:1024
	v_fma_f16 v140, v146, v141, v140
	v_mul_f16_e32 v142, v146, v142
	v_add_u32_e32 v146, 34, v5
	v_add_u32_e32 v149, 17, v5
	v_mul_lo_u32 v146, v1, v146
	v_mul_lo_u32 v149, v1, v149
	v_fma_f16 v141, v148, v141, -v142
	v_fma_f16 v90, v57, s3, v90
	v_lshlrev_b32_sdwa v142, v25, v146 dst_sel:DWORD dst_unused:UNUSED_PAD src0_sel:DWORD src1_sel:BYTE_0
	v_lshlrev_b32_sdwa v146, v25, v146 dst_sel:DWORD dst_unused:UNUSED_PAD src0_sel:DWORD src1_sel:BYTE_1
	v_lshlrev_b32_sdwa v148, v25, v149 dst_sel:DWORD dst_unused:UNUSED_PAD src0_sel:DWORD src1_sel:BYTE_0
	v_lshlrev_b32_sdwa v149, v25, v149 dst_sel:DWORD dst_unused:UNUSED_PAD src0_sel:DWORD src1_sel:BYTE_1
	global_load_dword v142, v142, s[16:17]
	s_nop 0
	global_load_dword v146, v146, s[16:17] offset:1024
	s_nop 0
	global_load_dword v148, v148, s[16:17]
	s_nop 0
	global_load_dword v149, v149, s[16:17] offset:1024
	v_fma_f16 v95, v52, s13, v95
	v_add_f16_sdwa v90, v90, v2 dst_sel:DWORD dst_unused:UNUSED_PAD src0_sel:DWORD src1_sel:WORD_1
	v_add_f16_e32 v90, v95, v90
	v_fma_f16 v94, v49, s21, v94
	v_add_f16_e32 v90, v94, v90
	v_fma_f16 v93, v47, s25, v93
	;; [unrolled: 2-line block ×3, first 2 shown]
	v_mul_lo_u32 v1, v1, v5
	v_add_f16_e32 v88, v88, v90
	v_fma_f16 v89, v28, s38, v89
	v_add_f16_e32 v88, v89, v88
	v_fma_f16 v89, v27, s37, v91
	;; [unrolled: 2-line block ×3, first 2 shown]
	v_add_f16_e32 v88, v89, v88
	v_lshlrev_b32_sdwa v89, v25, v1 dst_sel:DWORD dst_unused:UNUSED_PAD src0_sel:DWORD src1_sel:BYTE_0
	v_lshlrev_b32_sdwa v1, v25, v1 dst_sel:DWORD dst_unused:UNUSED_PAD src0_sel:DWORD src1_sel:BYTE_1
	global_load_dword v25, v89, s[16:17]
	s_nop 0
	global_load_dword v1, v1, s[16:17] offset:1024
	v_fma_f16 v121, v57, s13, v121
	v_fma_f16 v124, v52, s25, v124
	v_add_f16_sdwa v121, v121, v2 dst_sel:DWORD dst_unused:UNUSED_PAD src0_sel:DWORD src1_sel:WORD_1
	v_add_f16_e32 v121, v124, v121
	v_fma_f16 v122, v49, s38, v122
	v_add_f16_e32 v121, v122, v121
	v_fma_f16 v122, v47, s36, v123
	;; [unrolled: 2-line block ×3, first 2 shown]
	v_fma_f16 v98, v57, s12, v98
	v_add_f16_e32 v121, v122, v121
	v_fma_f16 v122, v28, s22, v126
	v_fma_f16 v101, v52, s21, v101
	v_add_f16_sdwa v98, v98, v2 dst_sel:DWORD dst_unused:UNUSED_PAD src0_sel:DWORD src1_sel:WORD_1
	v_add_f16_e32 v121, v122, v121
	v_fma_f16 v122, v27, s42, v127
	v_add_f16_e32 v98, v101, v98
	v_fma_f16 v99, v49, s41, v99
	;; [unrolled: 2-line block ×3, first 2 shown]
	v_fma_f16 v123, v64, s30, -v129
	v_add_f16_e32 v98, v99, v98
	v_fma_f16 v99, v47, s38, v100
	v_add_f16_e32 v122, v122, v121
	v_fma_f16 v121, v62, s35, -v132
	v_add_f16_e32 v123, v123, v2
	v_add_f16_e32 v98, v99, v98
	v_fma_f16 v99, v29, s39, v102
	v_add_f16_e32 v121, v121, v123
	v_fma_f16 v123, v66, s31, -v130
	v_add_f16_e32 v98, v99, v98
	v_fma_f16 v99, v28, s2, v103
	v_add_f16_e32 v121, v123, v121
	v_fma_f16 v123, v68, s23, -v131
	;; [unrolled: 4-line block ×3, first 2 shown]
	v_add_f16_e32 v98, v99, v98
	v_fma_f16 v99, v26, s22, v105
	v_fma_f16 v100, v64, s29, -v106
	s_waitcnt vmcnt(9)
	v_lshrrev_b32_e32 v150, 16, v143
	v_add_f16_e32 v121, v123, v121
	v_fma_f16 v123, v72, s34, -v134
	v_add_f16_e32 v98, v99, v98
	v_fma_f16 v99, v62, s33, -v109
	v_add_f16_e32 v100, v100, v2
	s_waitcnt vmcnt(8)
	v_mul_f16_sdwa v151, v150, v144 dst_sel:DWORD dst_unused:UNUSED_PAD src0_sel:DWORD src1_sel:WORD_1
	v_add_f16_e32 v121, v123, v121
	v_fma_f16 v123, v74, s33, -v135
	v_add_f16_e32 v99, v99, v100
	v_fma_f16 v100, v66, s35, -v107
	v_fma_f16 v151, v143, v144, -v151
	v_mul_f16_sdwa v143, v143, v144 dst_sel:DWORD dst_unused:UNUSED_PAD src0_sel:DWORD src1_sel:WORD_1
	v_add_f16_e32 v121, v123, v121
	v_fma_f16 v123, v76, s28, -v136
	v_add_f16_e32 v99, v100, v99
	v_fma_f16 v100, v68, s31, -v108
	v_fma_f16 v143, v150, v144, v143
	v_add_f16_e32 v123, v123, v121
	v_add_f16_e32 v99, v100, v99
	v_fma_f16 v100, v70, s28, -v110
	v_mul_f16_e32 v121, v123, v143
	v_add_f16_e32 v99, v100, v99
	v_fma_f16 v100, v72, s23, -v111
	v_fma_f16 v84, v64, s28, -v84
	v_fma_f16 v121, v122, v151, v121
	v_mul_f16_e32 v122, v122, v143
	v_add_f16_e32 v99, v100, v99
	v_fma_f16 v100, v74, s30, -v112
	v_fma_f16 v85, v62, s30, -v85
	v_add_f16_e32 v84, v84, v2
	v_fma_f16 v29, v29, s20, v33
	v_fma_f16 v33, v57, s2, v56
	v_fma_f16 v122, v123, v151, -v122
	s_waitcnt vmcnt(7)
	v_lshrrev_b32_e32 v123, 16, v147
	s_waitcnt vmcnt(6)
	v_mul_f16_sdwa v125, v147, v145 dst_sel:DWORD dst_unused:UNUSED_PAD src0_sel:DWORD src1_sel:WORD_1
	v_add_f16_e32 v99, v100, v99
	v_fma_f16 v100, v76, s34, -v113
	v_add_f16_e32 v84, v85, v84
	v_fma_f16 v78, v66, s33, -v78
	v_fma_f16 v26, v26, s25, v30
	v_fma_f16 v28, v28, s21, v32
	;; [unrolled: 1-line block ×4, first 2 shown]
	v_add_f16_sdwa v33, v33, v2 dst_sel:DWORD dst_unused:UNUSED_PAD src0_sel:DWORD src1_sel:WORD_1
	v_fma_f16 v34, v64, s23, -v65
	v_mul_f16_sdwa v124, v123, v145 dst_sel:DWORD dst_unused:UNUSED_PAD src0_sel:DWORD src1_sel:WORD_1
	v_fma_f16 v123, v123, v145, v125
	v_add_f16_e32 v99, v100, v99
	v_add_f16_e32 v78, v78, v84
	v_fma_f16 v79, v68, s35, -v79
	v_fma_f16 v27, v27, s22, v31
	v_fma_f16 v31, v49, s12, v48
	v_add_f16_e32 v32, v32, v33
	v_fma_f16 v33, v62, s28, -v63
	v_add_f16_e32 v34, v34, v2
	v_fma_f16 v124, v147, v145, -v124
	v_mul_f16_e32 v100, v99, v123
	v_add_f16_e32 v78, v79, v78
	v_fma_f16 v79, v70, s34, -v80
	v_add_f16_e32 v31, v31, v32
	v_fma_f16 v32, v66, s29, -v67
	v_add_f16_e32 v33, v33, v34
	v_fma_f16 v100, v98, v124, v100
	v_mul_f16_e32 v98, v98, v123
	v_add_f16_e32 v78, v79, v78
	v_fma_f16 v79, v72, s31, -v81
	v_add_f16_e32 v30, v30, v31
	v_fma_f16 v31, v68, s30, -v69
	v_add_f16_e32 v32, v32, v33
	v_fma_f16 v98, v99, v124, -v98
	s_waitcnt vmcnt(5)
	v_lshrrev_b32_e32 v99, 16, v142
	s_waitcnt vmcnt(4)
	v_mul_f16_sdwa v102, v142, v146 dst_sel:DWORD dst_unused:UNUSED_PAD src0_sel:DWORD src1_sel:WORD_1
	v_add_f16_e32 v78, v79, v78
	v_fma_f16 v79, v74, s29, -v82
	v_add_f16_e32 v29, v29, v30
	v_fma_f16 v30, v70, s31, -v71
	v_add_f16_e32 v31, v31, v32
	v_mul_f16_sdwa v101, v99, v146 dst_sel:DWORD dst_unused:UNUSED_PAD src0_sel:DWORD src1_sel:WORD_1
	v_fma_f16 v99, v99, v146, v102
	v_add_f16_e32 v78, v79, v78
	v_fma_f16 v79, v76, s23, -v83
	v_add_f16_e32 v28, v28, v29
	v_fma_f16 v29, v72, s33, -v73
	;; [unrolled: 2-line block ×3, first 2 shown]
	v_add_f16_e32 v78, v79, v78
	v_mul_f16_e32 v80, v88, v99
	v_add_f16_e32 v27, v27, v28
	v_fma_f16 v28, v74, s34, -v75
	v_add_f16_e32 v29, v29, v30
	v_mul_f16_e32 v79, v78, v99
	v_fma_f16 v78, v78, v101, -v80
	s_waitcnt vmcnt(3)
	v_lshrrev_b32_e32 v80, 16, v148
	s_waitcnt vmcnt(2)
	v_mul_f16_sdwa v82, v148, v149 dst_sel:DWORD dst_unused:UNUSED_PAD src0_sel:DWORD src1_sel:WORD_1
	v_add_f16_e32 v26, v26, v27
	v_fma_f16 v27, v76, s35, -v77
	v_add_f16_e32 v28, v28, v29
	v_mul_f16_sdwa v81, v80, v149 dst_sel:DWORD dst_unused:UNUSED_PAD src0_sel:DWORD src1_sel:WORD_1
	v_fma_f16 v80, v80, v149, v82
	v_add_f16_e32 v27, v27, v28
	v_fma_f16 v81, v148, v149, -v81
	v_mul_f16_e32 v28, v80, v27
	v_fma_f16 v28, v81, v26, v28
	v_mul_f16_e32 v26, v80, v26
	v_fma_f16 v26, v81, v27, -v26
	v_add_f16_sdwa v27, v53, v2 dst_sel:DWORD dst_unused:UNUSED_PAD src0_sel:DWORD src1_sel:WORD_1
	v_add_f16_e32 v2, v54, v2
	v_add_f16_e32 v27, v27, v44
	;; [unrolled: 1-line block ×26, first 2 shown]
	s_waitcnt vmcnt(1)
	v_lshrrev_b32_e32 v15, 16, v25
	v_add_f16_e32 v2, v2, v37
	v_add_f16_e32 v14, v14, v43
	s_waitcnt vmcnt(0)
	v_mul_f16_sdwa v16, v15, v1 dst_sel:DWORD dst_unused:UNUSED_PAD src0_sel:DWORD src1_sel:WORD_1
	v_add_f16_e32 v2, v2, v40
	v_mul_f16_sdwa v6, v25, v1 dst_sel:DWORD dst_unused:UNUSED_PAD src0_sel:DWORD src1_sel:WORD_1
	v_add_f16_e32 v14, v14, v55
	v_fma_f16 v16, v25, v1, -v16
	v_add_f16_e32 v2, v2, v51
	v_fma_f16 v1, v15, v1, v6
	s_mul_hi_u32 s2, s0, s24
	v_mul_f16_e32 v6, v2, v1
	v_mul_f16_e32 v1, v14, v1
	s_add_i32 s1, s2, s1
	v_fma_f16 v11, v2, v16, -v1
	v_mad_u64_u32 v[1:2], s[2:3], s10, v4, 0
	s_movk_i32 s2, 0x227
	v_mul_u32_u24_sdwa v0, v0, s2 dst_sel:DWORD dst_unused:UNUSED_PAD src0_sel:WORD_0 src1_sel:DWORD
	s_movk_i32 s2, 0x121
	v_mul_lo_u16_sdwa v0, v0, s2 dst_sel:DWORD dst_unused:UNUSED_PAD src0_sel:WORD_1 src1_sel:DWORD
	v_add_u32_e32 v12, v5, v0
	v_fma_f16 v10, v14, v16, v6
	v_mad_u64_u32 v[5:6], s[2:3], s8, v12, 0
	v_mov_b32_e32 v0, v2
	v_mad_u64_u32 v[7:8], s[2:3], s11, v4, v[0:1]
	s_mul_i32 s0, s0, s24
	v_mov_b32_e32 v0, v6
	v_mad_u64_u32 v[8:9], s[2:3], s9, v12, v[0:1]
	s_lshl_b64 s[0:1], s[0:1], 2
	s_add_u32 s2, s14, s0
	v_mov_b32_e32 v2, v7
	s_addc_u32 s3, s15, s1
	s_lshl_b64 s[0:1], s[4:5], 2
	s_add_u32 s0, s2, s0
	v_lshlrev_b64 v[0:1], 2, v[1:2]
	s_addc_u32 s1, s3, s1
	v_mov_b32_e32 v6, v8
	v_mov_b32_e32 v2, s1
	v_add_co_u32_e32 v7, vcc, s0, v0
	v_addc_co_u32_e32 v8, vcc, v2, v1, vcc
	v_lshlrev_b64 v[0:1], 2, v[5:6]
	v_add_u32_e32 v6, 17, v12
	v_mad_u64_u32 v[4:5], s[0:1], s8, v6, 0
	v_add_co_u32_e32 v0, vcc, v7, v0
	v_mov_b32_e32 v2, v5
	v_mad_u64_u32 v[5:6], s[0:1], s9, v6, v[2:3]
	v_addc_co_u32_e32 v1, vcc, v8, v1, vcc
	v_pack_b32_f16 v2, v11, v10
	v_add_u32_e32 v6, 34, v12
	global_store_dword v[0:1], v2, off
	v_lshlrev_b64 v[0:1], 2, v[4:5]
	v_mad_u64_u32 v[4:5], s[0:1], s8, v6, 0
	v_add_co_u32_e32 v0, vcc, v7, v0
	v_mov_b32_e32 v2, v5
	v_mad_u64_u32 v[5:6], s[0:1], s9, v6, v[2:3]
	v_addc_co_u32_e32 v1, vcc, v8, v1, vcc
	v_pack_b32_f16 v2, v26, v28
	v_add_u32_e32 v6, 51, v12
	global_store_dword v[0:1], v2, off
	v_lshlrev_b64 v[0:1], 2, v[4:5]
	v_mad_u64_u32 v[4:5], s[0:1], s8, v6, 0
	v_fma_f16 v79, v88, v101, v79
	v_add_co_u32_e32 v0, vcc, v7, v0
	v_mov_b32_e32 v2, v5
	v_mad_u64_u32 v[5:6], s[0:1], s9, v6, v[2:3]
	v_addc_co_u32_e32 v1, vcc, v8, v1, vcc
	v_pack_b32_f16 v2, v78, v79
	v_add_u32_e32 v6, 0x44, v12
	global_store_dword v[0:1], v2, off
	v_lshlrev_b64 v[0:1], 2, v[4:5]
	v_mad_u64_u32 v[4:5], s[0:1], s8, v6, 0
	v_add_co_u32_e32 v0, vcc, v7, v0
	v_mov_b32_e32 v2, v5
	v_mad_u64_u32 v[5:6], s[0:1], s9, v6, v[2:3]
	v_addc_co_u32_e32 v1, vcc, v8, v1, vcc
	v_pack_b32_f16 v2, v98, v100
	v_add_u32_e32 v6, 0x55, v12
	global_store_dword v[0:1], v2, off
	v_lshlrev_b64 v[0:1], 2, v[4:5]
	v_mad_u64_u32 v[4:5], s[0:1], s8, v6, 0
	;; [unrolled: 9-line block ×13, first 2 shown]
	v_add_co_u32_e32 v0, vcc, v7, v0
	v_mov_b32_e32 v2, v5
	v_mad_u64_u32 v[5:6], s[0:1], s9, v6, v[2:3]
	v_addc_co_u32_e32 v1, vcc, v8, v1, vcc
	v_pack_b32_f16 v2, v46, v45
	global_store_dword v[0:1], v2, off
	v_lshlrev_b64 v[0:1], 2, v[4:5]
	v_pack_b32_f16 v2, v36, v3
	v_add_co_u32_e32 v0, vcc, v7, v0
	v_addc_co_u32_e32 v1, vcc, v8, v1, vcc
	global_store_dword v[0:1], v2, off
.LBB0_16:
	s_endpgm
	.section	.rodata,"a",@progbits
	.p2align	6, 0x0
	.amdhsa_kernel fft_rtc_fwd_len289_factors_17_17_wgs_119_tpt_17_half_op_CI_CI_sbcc_twdbase8_2step_dirReg
		.amdhsa_group_segment_fixed_size 0
		.amdhsa_private_segment_fixed_size 0
		.amdhsa_kernarg_size 112
		.amdhsa_user_sgpr_count 6
		.amdhsa_user_sgpr_private_segment_buffer 1
		.amdhsa_user_sgpr_dispatch_ptr 0
		.amdhsa_user_sgpr_queue_ptr 0
		.amdhsa_user_sgpr_kernarg_segment_ptr 1
		.amdhsa_user_sgpr_dispatch_id 0
		.amdhsa_user_sgpr_flat_scratch_init 0
		.amdhsa_user_sgpr_private_segment_size 0
		.amdhsa_uses_dynamic_stack 0
		.amdhsa_system_sgpr_private_segment_wavefront_offset 0
		.amdhsa_system_sgpr_workgroup_id_x 1
		.amdhsa_system_sgpr_workgroup_id_y 0
		.amdhsa_system_sgpr_workgroup_id_z 0
		.amdhsa_system_sgpr_workgroup_info 0
		.amdhsa_system_vgpr_workitem_id 0
		.amdhsa_next_free_vgpr 208
		.amdhsa_next_free_sgpr 57
		.amdhsa_reserve_vcc 1
		.amdhsa_reserve_flat_scratch 0
		.amdhsa_float_round_mode_32 0
		.amdhsa_float_round_mode_16_64 0
		.amdhsa_float_denorm_mode_32 3
		.amdhsa_float_denorm_mode_16_64 3
		.amdhsa_dx10_clamp 1
		.amdhsa_ieee_mode 1
		.amdhsa_fp16_overflow 0
		.amdhsa_exception_fp_ieee_invalid_op 0
		.amdhsa_exception_fp_denorm_src 0
		.amdhsa_exception_fp_ieee_div_zero 0
		.amdhsa_exception_fp_ieee_overflow 0
		.amdhsa_exception_fp_ieee_underflow 0
		.amdhsa_exception_fp_ieee_inexact 0
		.amdhsa_exception_int_div_zero 0
	.end_amdhsa_kernel
	.text
.Lfunc_end0:
	.size	fft_rtc_fwd_len289_factors_17_17_wgs_119_tpt_17_half_op_CI_CI_sbcc_twdbase8_2step_dirReg, .Lfunc_end0-fft_rtc_fwd_len289_factors_17_17_wgs_119_tpt_17_half_op_CI_CI_sbcc_twdbase8_2step_dirReg
                                        ; -- End function
	.section	.AMDGPU.csdata,"",@progbits
; Kernel info:
; codeLenInByte = 15876
; NumSgprs: 61
; NumVgprs: 208
; ScratchSize: 0
; MemoryBound: 0
; FloatMode: 240
; IeeeMode: 1
; LDSByteSize: 0 bytes/workgroup (compile time only)
; SGPRBlocks: 7
; VGPRBlocks: 51
; NumSGPRsForWavesPerEU: 61
; NumVGPRsForWavesPerEU: 208
; Occupancy: 1
; WaveLimiterHint : 1
; COMPUTE_PGM_RSRC2:SCRATCH_EN: 0
; COMPUTE_PGM_RSRC2:USER_SGPR: 6
; COMPUTE_PGM_RSRC2:TRAP_HANDLER: 0
; COMPUTE_PGM_RSRC2:TGID_X_EN: 1
; COMPUTE_PGM_RSRC2:TGID_Y_EN: 0
; COMPUTE_PGM_RSRC2:TGID_Z_EN: 0
; COMPUTE_PGM_RSRC2:TIDIG_COMP_CNT: 0
	.type	__hip_cuid_5690898b26cc7cca,@object ; @__hip_cuid_5690898b26cc7cca
	.section	.bss,"aw",@nobits
	.globl	__hip_cuid_5690898b26cc7cca
__hip_cuid_5690898b26cc7cca:
	.byte	0                               ; 0x0
	.size	__hip_cuid_5690898b26cc7cca, 1

	.ident	"AMD clang version 19.0.0git (https://github.com/RadeonOpenCompute/llvm-project roc-6.4.0 25133 c7fe45cf4b819c5991fe208aaa96edf142730f1d)"
	.section	".note.GNU-stack","",@progbits
	.addrsig
	.addrsig_sym __hip_cuid_5690898b26cc7cca
	.amdgpu_metadata
---
amdhsa.kernels:
  - .args:
      - .actual_access:  read_only
        .address_space:  global
        .offset:         0
        .size:           8
        .value_kind:     global_buffer
      - .address_space:  global
        .offset:         8
        .size:           8
        .value_kind:     global_buffer
      - .offset:         16
        .size:           8
        .value_kind:     by_value
      - .actual_access:  read_only
        .address_space:  global
        .offset:         24
        .size:           8
        .value_kind:     global_buffer
      - .actual_access:  read_only
        .address_space:  global
        .offset:         32
        .size:           8
        .value_kind:     global_buffer
      - .actual_access:  read_only
        .address_space:  global
        .offset:         40
        .size:           8
        .value_kind:     global_buffer
      - .offset:         48
        .size:           8
        .value_kind:     by_value
      - .actual_access:  read_only
        .address_space:  global
        .offset:         56
        .size:           8
        .value_kind:     global_buffer
      - .actual_access:  read_only
        .address_space:  global
        .offset:         64
        .size:           8
        .value_kind:     global_buffer
      - .offset:         72
        .size:           4
        .value_kind:     by_value
      - .actual_access:  read_only
        .address_space:  global
        .offset:         80
        .size:           8
        .value_kind:     global_buffer
      - .actual_access:  read_only
        .address_space:  global
        .offset:         88
        .size:           8
        .value_kind:     global_buffer
      - .actual_access:  read_only
        .address_space:  global
        .offset:         96
        .size:           8
        .value_kind:     global_buffer
      - .actual_access:  write_only
        .address_space:  global
        .offset:         104
        .size:           8
        .value_kind:     global_buffer
    .group_segment_fixed_size: 0
    .kernarg_segment_align: 8
    .kernarg_segment_size: 112
    .language:       OpenCL C
    .language_version:
      - 2
      - 0
    .max_flat_workgroup_size: 119
    .name:           fft_rtc_fwd_len289_factors_17_17_wgs_119_tpt_17_half_op_CI_CI_sbcc_twdbase8_2step_dirReg
    .private_segment_fixed_size: 0
    .sgpr_count:     61
    .sgpr_spill_count: 0
    .symbol:         fft_rtc_fwd_len289_factors_17_17_wgs_119_tpt_17_half_op_CI_CI_sbcc_twdbase8_2step_dirReg.kd
    .uniform_work_group_size: 1
    .uses_dynamic_stack: false
    .vgpr_count:     208
    .vgpr_spill_count: 0
    .wavefront_size: 64
amdhsa.target:   amdgcn-amd-amdhsa--gfx906
amdhsa.version:
  - 1
  - 2
...

	.end_amdgpu_metadata
